;; amdgpu-corpus repo=ROCm/rocFFT kind=compiled arch=gfx906 opt=O3
	.text
	.amdgcn_target "amdgcn-amd-amdhsa--gfx906"
	.amdhsa_code_object_version 6
	.protected	bluestein_single_back_len425_dim1_dp_op_CI_CI ; -- Begin function bluestein_single_back_len425_dim1_dp_op_CI_CI
	.globl	bluestein_single_back_len425_dim1_dp_op_CI_CI
	.p2align	8
	.type	bluestein_single_back_len425_dim1_dp_op_CI_CI,@function
bluestein_single_back_len425_dim1_dp_op_CI_CI: ; @bluestein_single_back_len425_dim1_dp_op_CI_CI
; %bb.0:
	v_mul_u32_u24_e32 v1, 0xf10, v0
	s_mov_b64 s[62:63], s[2:3]
	s_load_dwordx4 s[8:11], s[4:5], 0x28
	v_lshrrev_b32_e32 v1, 16, v1
	s_mov_b64 s[60:61], s[0:1]
	v_mad_u64_u32 v[79:80], s[0:1], s6, 3, v[1:2]
	v_mov_b32_e32 v80, 0
	s_add_u32 s60, s60, s7
	s_waitcnt lgkmcnt(0)
	v_cmp_gt_u64_e32 vcc, s[8:9], v[79:80]
	s_addc_u32 s61, s61, 0
	s_and_saveexec_b64 s[0:1], vcc
	s_cbranch_execz .LBB0_15
; %bb.1:
	s_load_dwordx4 s[0:3], s[4:5], 0x18
	s_load_dwordx2 s[6:7], s[4:5], 0x0
	v_mul_lo_u16_e32 v1, 17, v1
	v_sub_u16_e32 v238, v0, v1
	v_lshlrev_b32_e32 v98, 4, v238
	s_waitcnt lgkmcnt(0)
	s_load_dwordx4 s[12:15], s[0:1], 0x0
	s_waitcnt lgkmcnt(0)
	v_mad_u64_u32 v[0:1], s[0:1], s14, v79, 0
	v_mad_u64_u32 v[2:3], s[0:1], s12, v238, 0
	s_mul_hi_u32 s8, s12, 25
	v_mad_u64_u32 v[4:5], s[0:1], s15, v79, v[1:2]
	s_load_dwordx2 s[14:15], s[4:5], 0x38
	v_mad_u64_u32 v[5:6], s[0:1], s13, v238, v[3:4]
	v_mov_b32_e32 v1, v4
	v_lshlrev_b64 v[0:1], 4, v[0:1]
	v_mov_b32_e32 v3, v5
	v_mov_b32_e32 v6, s11
	v_lshlrev_b64 v[2:3], 4, v[2:3]
	v_add_co_u32_e32 v14, vcc, s10, v0
	v_addc_co_u32_e32 v15, vcc, v6, v1, vcc
	v_add_co_u32_e32 v4, vcc, v14, v2
	v_addc_co_u32_e32 v5, vcc, v15, v3, vcc
	s_mul_i32 s1, s13, 25
	v_mov_b32_e32 v6, s7
	v_add_co_u32_e32 v56, vcc, s6, v98
	s_mul_i32 s0, s12, 25
	s_add_i32 s1, s8, s1
	v_addc_co_u32_e32 v57, vcc, 0, v6, vcc
	s_lshl_b64 s[16:17], s[0:1], 4
	global_load_dwordx4 v[80:83], v98, s[6:7]
	global_load_dwordx4 v[0:3], v[4:5], off
	v_mov_b32_e32 v72, s17
	v_add_co_u32_e32 v4, vcc, s16, v4
	v_addc_co_u32_e32 v5, vcc, v5, v72, vcc
	v_add_co_u32_e32 v10, vcc, s16, v4
	v_addc_co_u32_e32 v11, vcc, v5, v72, vcc
	global_load_dwordx4 v[136:139], v98, s[6:7] offset:400
	global_load_dwordx4 v[120:123], v98, s[6:7] offset:800
	;; [unrolled: 1-line block ×10, first 2 shown]
	global_load_dwordx4 v[6:9], v[4:5], off
	global_load_dwordx4 v[16:19], v[10:11], off
	v_add_co_u32_e32 v4, vcc, s16, v10
	v_addc_co_u32_e32 v5, vcc, v11, v72, vcc
	v_add_co_u32_e32 v10, vcc, s16, v4
	v_addc_co_u32_e32 v11, vcc, v5, v72, vcc
	global_load_dwordx4 v[20:23], v[4:5], off
	global_load_dwordx4 v[24:27], v[10:11], off
	v_add_co_u32_e32 v4, vcc, s16, v10
	v_addc_co_u32_e32 v5, vcc, v11, v72, vcc
	v_add_co_u32_e32 v10, vcc, s16, v4
	v_addc_co_u32_e32 v11, vcc, v5, v72, vcc
	global_load_dwordx4 v[28:31], v[4:5], off
	v_add_co_u32_e32 v4, vcc, s16, v10
	v_addc_co_u32_e32 v5, vcc, v11, v72, vcc
	global_load_dwordx4 v[32:35], v[10:11], off
	;; [unrolled: 3-line block ×5, first 2 shown]
	v_add_co_u32_e32 v4, vcc, s16, v10
	v_addc_co_u32_e32 v5, vcc, v11, v72, vcc
	s_movk_i32 s0, 0x1000
	global_load_dwordx4 v[48:51], v[10:11], off
	global_load_dwordx4 v[52:55], v[4:5], off
	v_add_co_u32_e32 v12, vcc, s0, v56
	buffer_store_dword v56, off, s[60:63], 0 offset:112 ; 4-byte Folded Spill
	s_nop 0
	buffer_store_dword v57, off, s[60:63], 0 offset:116 ; 4-byte Folded Spill
	s_mov_b32 s0, 0xaaaaaaab
	v_mul_hi_u32 v78, v79, s0
	s_waitcnt vmcnt(23)
	v_mul_f64 v[76:77], v[2:3], v[82:83]
	v_mul_f64 v[10:11], v[0:1], v[82:83]
	v_fma_f64 v[0:1], v[0:1], v[80:81], v[76:77]
	s_waitcnt vmcnt(11)
	v_mul_f64 v[76:77], v[16:17], v[122:123]
	s_waitcnt vmcnt(9)
	v_mul_f64 v[84:85], v[24:25], v[118:119]
	;; [unrolled: 2-line block ×3, first 2 shown]
	v_addc_co_u32_e32 v13, vcc, 0, v57, vcc
	v_add_co_u32_e32 v4, vcc, s16, v4
	v_addc_co_u32_e32 v5, vcc, v5, v72, vcc
	global_load_dwordx4 v[56:59], v[4:5], off
	global_load_dwordx4 v[152:155], v[12:13], off offset:304
	global_load_dwordx4 v[132:135], v[12:13], off offset:704
	v_add_co_u32_e32 v4, vcc, s16, v4
	v_addc_co_u32_e32 v5, vcc, v5, v72, vcc
	global_load_dwordx4 v[60:63], v[4:5], off
	v_add_co_u32_e32 v4, vcc, s16, v4
	v_addc_co_u32_e32 v5, vcc, v5, v72, vcc
	global_load_dwordx4 v[64:67], v[4:5], off
	global_load_dwordx4 v[148:151], v[12:13], off offset:1104
	global_load_dwordx4 v[128:131], v[12:13], off offset:1504
	v_add_co_u32_e32 v4, vcc, s16, v4
	v_addc_co_u32_e32 v5, vcc, v5, v72, vcc
	global_load_dwordx4 v[68:71], v[4:5], off
	v_add_co_u32_e32 v4, vcc, s16, v4
	v_addc_co_u32_e32 v5, vcc, v5, v72, vcc
	global_load_dwordx4 v[140:143], v[12:13], off offset:1904
	global_load_dwordx4 v[72:75], v[4:5], off
	global_load_dwordx4 v[144:147], v[12:13], off offset:2304
	s_nop 0
	buffer_store_dword v80, off, s[60:63], 0 offset:288 ; 4-byte Folded Spill
	s_nop 0
	buffer_store_dword v81, off, s[60:63], 0 offset:292 ; 4-byte Folded Spill
	buffer_store_dword v82, off, s[60:63], 0 offset:296 ; 4-byte Folded Spill
	;; [unrolled: 1-line block ×3, first 2 shown]
	s_load_dwordx4 s[8:11], s[2:3], 0x0
	v_mul_f64 v[82:83], v[26:27], v[118:119]
	v_cmp_gt_u16_e32 vcc, 8, v238
	v_fma_f64 v[2:3], v[2:3], v[80:81], -v[10:11]
	v_lshrrev_b32_e32 v10, 1, v78
	v_lshl_add_u32 v10, v10, 1, v10
	v_sub_u32_e32 v10, v79, v10
	v_mul_u32_u24_e32 v10, 0x1a9, v10
	v_mov_b32_e32 v11, v79
	v_lshlrev_b32_e32 v239, 4, v10
	buffer_store_dword v11, off, s[60:63], 0 offset:120 ; 4-byte Folded Spill
	s_nop 0
	buffer_store_dword v12, off, s[60:63], 0 offset:124 ; 4-byte Folded Spill
	v_add_u32_e32 v103, v98, v239
	ds_write_b128 v103, v[0:3]
	v_mul_f64 v[0:1], v[8:9], v[138:139]
	v_mul_f64 v[10:11], v[18:19], v[122:123]
	;; [unrolled: 1-line block ×5, first 2 shown]
	v_fma_f64 v[0:1], v[6:7], v[136:137], v[0:1]
	buffer_store_dword v136, off, s[60:63], 0 offset:320 ; 4-byte Folded Spill
	s_nop 0
	buffer_store_dword v137, off, s[60:63], 0 offset:324 ; 4-byte Folded Spill
	buffer_store_dword v138, off, s[60:63], 0 offset:328 ; 4-byte Folded Spill
	buffer_store_dword v139, off, s[60:63], 0 offset:332 ; 4-byte Folded Spill
	v_fma_f64 v[6:7], v[16:17], v[120:121], v[10:11]
	buffer_store_dword v120, off, s[60:63], 0 offset:240 ; 4-byte Folded Spill
	s_nop 0
	buffer_store_dword v121, off, s[60:63], 0 offset:244 ; 4-byte Folded Spill
	buffer_store_dword v122, off, s[60:63], 0 offset:248 ; 4-byte Folded Spill
	buffer_store_dword v123, off, s[60:63], 0 offset:252 ; 4-byte Folded Spill
	v_fma_f64 v[16:17], v[20:21], v[124:125], v[78:79]
	buffer_store_dword v124, off, s[60:63], 0 offset:256 ; 4-byte Folded Spill
	s_nop 0
	buffer_store_dword v125, off, s[60:63], 0 offset:260 ; 4-byte Folded Spill
	buffer_store_dword v126, off, s[60:63], 0 offset:264 ; 4-byte Folded Spill
	buffer_store_dword v127, off, s[60:63], 0 offset:268 ; 4-byte Folded Spill
	v_fma_f64 v[20:21], v[24:25], v[116:117], v[82:83]
	buffer_store_dword v116, off, s[60:63], 0 offset:224 ; 4-byte Folded Spill
	s_nop 0
	buffer_store_dword v117, off, s[60:63], 0 offset:228 ; 4-byte Folded Spill
	buffer_store_dword v118, off, s[60:63], 0 offset:232 ; 4-byte Folded Spill
	buffer_store_dword v119, off, s[60:63], 0 offset:236 ; 4-byte Folded Spill
	v_mul_f64 v[10:11], v[30:31], v[114:115]
	v_mul_f64 v[78:79], v[32:33], v[110:111]
	;; [unrolled: 1-line block ×3, first 2 shown]
	v_fma_f64 v[24:25], v[28:29], v[112:113], v[10:11]
	s_waitcnt vmcnt(31)
	v_mul_f64 v[10:11], v[54:55], v[154:155]
	v_fma_f64 v[2:3], v[8:9], v[136:137], -v[2:3]
	v_fma_f64 v[8:9], v[18:19], v[120:121], -v[76:77]
	v_mul_f64 v[76:77], v[34:35], v[110:111]
	v_fma_f64 v[18:19], v[22:23], v[124:125], -v[80:81]
	v_mul_f64 v[80:81], v[38:39], v[106:107]
	v_fma_f64 v[22:23], v[26:27], v[116:117], -v[84:85]
	v_mul_f64 v[84:85], v[42:43], v[101:102]
	v_mul_f64 v[26:27], v[28:29], v[114:115]
	buffer_store_dword v112, off, s[60:63], 0 offset:208 ; 4-byte Folded Spill
	s_nop 0
	buffer_store_dword v113, off, s[60:63], 0 offset:212 ; 4-byte Folded Spill
	buffer_store_dword v114, off, s[60:63], 0 offset:216 ; 4-byte Folded Spill
	buffer_store_dword v115, off, s[60:63], 0 offset:220 ; 4-byte Folded Spill
	v_fma_f64 v[28:29], v[32:33], v[108:109], v[76:77]
	buffer_store_dword v108, off, s[60:63], 0 offset:192 ; 4-byte Folded Spill
	s_nop 0
	buffer_store_dword v109, off, s[60:63], 0 offset:196 ; 4-byte Folded Spill
	buffer_store_dword v110, off, s[60:63], 0 offset:200 ; 4-byte Folded Spill
	buffer_store_dword v111, off, s[60:63], 0 offset:204 ; 4-byte Folded Spill
	v_fma_f64 v[32:33], v[36:37], v[104:105], v[80:81]
	;; [unrolled: 6-line block ×3, first 2 shown]
	buffer_store_dword v99, off, s[60:63], 0 offset:160 ; 4-byte Folded Spill
	s_nop 0
	buffer_store_dword v100, off, s[60:63], 0 offset:164 ; 4-byte Folded Spill
	buffer_store_dword v101, off, s[60:63], 0 offset:168 ; 4-byte Folded Spill
	;; [unrolled: 1-line block ×3, first 2 shown]
	v_fma_f64 v[26:27], v[30:31], v[112:113], -v[26:27]
	v_fma_f64 v[30:31], v[34:35], v[108:109], -v[78:79]
	;; [unrolled: 1-line block ×4, first 2 shown]
	ds_write_b128 v103, v[0:3] offset:400
	ds_write_b128 v103, v[6:9] offset:800
	;; [unrolled: 1-line block ×8, first 2 shown]
	v_mul_f64 v[0:1], v[46:47], v[94:95]
	v_mul_f64 v[6:7], v[50:51], v[90:91]
	s_waitcnt vmcnt(46)
	v_mul_f64 v[20:21], v[58:59], v[134:135]
	v_fma_f64 v[16:17], v[52:53], v[152:153], v[10:11]
	s_waitcnt vmcnt(43)
	v_mul_f64 v[10:11], v[62:63], v[150:151]
	s_waitcnt vmcnt(42)
	v_mul_f64 v[28:29], v[66:67], v[130:131]
	s_waitcnt vmcnt(40)
	v_mul_f64 v[32:33], v[70:71], v[142:143]
	s_waitcnt vmcnt(38)
	v_mul_f64 v[36:37], v[74:75], v[146:147]
	v_mul_f64 v[2:3], v[44:45], v[94:95]
	v_fma_f64 v[0:1], v[44:45], v[92:93], v[0:1]
	buffer_store_dword v92, off, s[60:63], 0 offset:144 ; 4-byte Folded Spill
	s_nop 0
	buffer_store_dword v93, off, s[60:63], 0 offset:148 ; 4-byte Folded Spill
	buffer_store_dword v94, off, s[60:63], 0 offset:152 ; 4-byte Folded Spill
	;; [unrolled: 1-line block ×3, first 2 shown]
	v_mul_f64 v[8:9], v[48:49], v[90:91]
	v_fma_f64 v[6:7], v[48:49], v[88:89], v[6:7]
	buffer_store_dword v88, off, s[60:63], 0 offset:128 ; 4-byte Folded Spill
	s_nop 0
	buffer_store_dword v89, off, s[60:63], 0 offset:132 ; 4-byte Folded Spill
	buffer_store_dword v90, off, s[60:63], 0 offset:136 ; 4-byte Folded Spill
	;; [unrolled: 1-line block ×3, first 2 shown]
	v_mul_f64 v[18:19], v[52:53], v[154:155]
	buffer_store_dword v152, off, s[60:63], 0 offset:384 ; 4-byte Folded Spill
	s_nop 0
	buffer_store_dword v153, off, s[60:63], 0 offset:388 ; 4-byte Folded Spill
	buffer_store_dword v154, off, s[60:63], 0 offset:392 ; 4-byte Folded Spill
	buffer_store_dword v155, off, s[60:63], 0 offset:396 ; 4-byte Folded Spill
	v_mul_f64 v[22:23], v[56:57], v[134:135]
	v_fma_f64 v[20:21], v[56:57], v[132:133], v[20:21]
	buffer_store_dword v132, off, s[60:63], 0 offset:304 ; 4-byte Folded Spill
	s_nop 0
	buffer_store_dword v133, off, s[60:63], 0 offset:308 ; 4-byte Folded Spill
	buffer_store_dword v134, off, s[60:63], 0 offset:312 ; 4-byte Folded Spill
	buffer_store_dword v135, off, s[60:63], 0 offset:316 ; 4-byte Folded Spill
	v_mul_f64 v[26:27], v[60:61], v[150:151]
	v_fma_f64 v[24:25], v[60:61], v[148:149], v[10:11]
	;; [unrolled: 7-line block ×5, first 2 shown]
	buffer_store_dword v144, off, s[60:63], 0 offset:352 ; 4-byte Folded Spill
	s_nop 0
	buffer_store_dword v145, off, s[60:63], 0 offset:356 ; 4-byte Folded Spill
	buffer_store_dword v146, off, s[60:63], 0 offset:360 ; 4-byte Folded Spill
	;; [unrolled: 1-line block ×3, first 2 shown]
	v_fma_f64 v[2:3], v[46:47], v[92:93], -v[2:3]
	v_fma_f64 v[8:9], v[50:51], v[88:89], -v[8:9]
	;; [unrolled: 1-line block ×8, first 2 shown]
	ds_write_b128 v103, v[0:3] offset:3600
	ds_write_b128 v103, v[6:9] offset:4000
	;; [unrolled: 1-line block ×8, first 2 shown]
	s_and_saveexec_b64 s[2:3], vcc
	s_cbranch_execz .LBB0_3
; %bb.2:
	buffer_load_dword v44, off, s[60:63], 0 offset:112 ; 4-byte Folded Reload
	buffer_load_dword v45, off, s[60:63], 0 offset:116 ; 4-byte Folded Reload
	v_mov_b32_e32 v0, 0xffffe810
	v_mad_u64_u32 v[56:57], s[0:1], s12, v0, v[4:5]
	s_mul_i32 s0, s13, 0xffffe810
	s_sub_i32 s0, s0, s12
	v_or_b32_e32 v61, 0xc0, v238
	v_add_u32_e32 v57, s0, v57
	v_mad_u64_u32 v[76:77], s[0:1], s12, v61, 0
	v_mov_b32_e32 v121, s17
	v_add_co_u32_e64 v59, s[0:1], s16, v56
	v_mov_b32_e32 v58, v77
	v_addc_co_u32_e64 v60, s[0:1], v57, v121, s[0:1]
	v_mad_u64_u32 v[72:73], s[0:1], s13, v61, v[58:59]
	v_add_co_u32_e64 v63, s[0:1], s16, v59
	v_addc_co_u32_e64 v64, s[0:1], v60, v121, s[0:1]
	v_add_co_u32_e64 v67, s[0:1], s16, v63
	v_addc_co_u32_e64 v68, s[0:1], v64, v121, s[0:1]
	;; [unrolled: 2-line block ×4, first 2 shown]
	v_add_co_u32_e64 v80, s[0:1], s16, v78
	v_mov_b32_e32 v128, 0x320
	v_mov_b32_e32 v77, v72
	v_addc_co_u32_e64 v81, s[0:1], v79, v121, s[0:1]
	v_lshlrev_b64 v[82:83], 4, v[76:77]
	v_mad_u64_u32 v[87:88], s[0:1], s12, v128, v[80:81]
	s_mul_i32 s17, s13, 0x320
	v_or_b32_e32 v129, 0x188, v238
	v_add_u32_e32 v88, s17, v88
	s_waitcnt vmcnt(0)
	global_load_dwordx4 v[0:3], v[44:45], off offset:272
	global_load_dwordx4 v[4:7], v[56:57], off
	global_load_dwordx4 v[8:11], v[44:45], off offset:672
	global_load_dwordx4 v[16:19], v[44:45], off offset:1072
	;; [unrolled: 1-line block ×8, first 2 shown]
	s_nop 0
	global_load_dwordx4 v[44:47], v[44:45], off offset:3872
	s_nop 0
	global_load_dwordx4 v[48:51], v[12:13], off offset:176
	global_load_dwordx4 v[52:55], v[12:13], off offset:576
	s_waitcnt vmcnt(11)
	v_mul_f64 v[140:141], v[6:7], v[2:3]
	global_load_dwordx4 v[56:59], v[59:60], off
	s_nop 0
	global_load_dwordx4 v[60:63], v[63:64], off
	s_nop 0
	;; [unrolled: 2-line block ×5, first 2 shown]
	global_load_dwordx4 v[76:79], v[80:81], off
	v_add_co_u32_e64 v80, s[0:1], v14, v82
	v_addc_co_u32_e64 v81, s[0:1], v15, v83, s[0:1]
	v_add_co_u32_e64 v91, s[0:1], s16, v87
	v_addc_co_u32_e64 v92, s[0:1], v88, v121, s[0:1]
	;; [unrolled: 2-line block ×4, first 2 shown]
	global_load_dwordx4 v[84:87], v[87:88], off
	s_nop 0
	global_load_dwordx4 v[88:91], v[91:92], off
	s_nop 0
	global_load_dwordx4 v[92:95], v[95:96], off
	v_add_co_u32_e64 v96, s[0:1], s16, v104
	v_addc_co_u32_e64 v97, s[0:1], v105, v121, s[0:1]
	global_load_dwordx4 v[99:102], v[104:105], off
	s_nop 0
	global_load_dwordx4 v[104:107], v[96:97], off
	v_add_co_u32_e64 v96, s[0:1], s16, v96
	v_addc_co_u32_e64 v97, s[0:1], v97, v121, s[0:1]
	v_mad_u64_u32 v[124:125], s[0:1], s12, v129, 0
	global_load_dwordx4 v[80:83], v[80:81], off
	s_nop 0
	global_load_dwordx4 v[108:111], v[96:97], off
	global_load_dwordx4 v[112:115], v[12:13], off offset:976
	global_load_dwordx4 v[116:119], v[12:13], off offset:1376
	v_mov_b32_e32 v120, v125
	v_mad_u64_u32 v[125:126], s[0:1], s13, v129, v[120:121]
	v_add_co_u32_e64 v96, s[0:1], s16, v96
	v_lshlrev_b64 v[124:125], 4, v[124:125]
	v_addc_co_u32_e64 v97, s[0:1], v97, v121, s[0:1]
	v_add_co_u32_e64 v14, s[0:1], v14, v124
	v_addc_co_u32_e64 v15, s[0:1], v15, v125, s[0:1]
	global_load_dwordx4 v[124:127], v[14:15], off
	v_mad_u64_u32 v[14:15], s[0:1], s12, v128, v[96:97]
	global_load_dwordx4 v[120:123], v[96:97], off
	v_lshlrev_b32_e32 v96, 4, v129
	global_load_dwordx4 v[128:131], v[12:13], off offset:1776
	global_load_dwordx4 v[132:135], v96, s[6:7]
	v_add_u32_e32 v15, s17, v15
	global_load_dwordx4 v[136:139], v[14:15], off
	s_nop 0
	global_load_dwordx4 v[12:15], v[12:13], off offset:2576
	v_mul_f64 v[96:97], v[4:5], v[2:3]
	v_fma_f64 v[2:3], v[4:5], v[0:1], v[140:141]
	v_fma_f64 v[4:5], v[6:7], v[0:1], -v[96:97]
	s_waitcnt vmcnt(20)
	v_mul_f64 v[0:1], v[58:59], v[10:11]
	s_waitcnt vmcnt(19)
	v_mul_f64 v[6:7], v[60:61], v[18:19]
	ds_write_b128 v103, v[2:5] offset:272
	v_mul_f64 v[2:3], v[56:57], v[10:11]
	v_mul_f64 v[4:5], v[62:63], v[18:19]
	s_waitcnt vmcnt(18)
	v_mul_f64 v[10:11], v[66:67], v[22:23]
	v_mul_f64 v[18:19], v[64:65], v[22:23]
	s_waitcnt vmcnt(17)
	v_mul_f64 v[22:23], v[70:71], v[26:27]
	v_mul_f64 v[26:27], v[68:69], v[26:27]
	v_fma_f64 v[0:1], v[56:57], v[8:9], v[0:1]
	v_fma_f64 v[6:7], v[62:63], v[16:17], -v[6:7]
	v_fma_f64 v[2:3], v[58:59], v[8:9], -v[2:3]
	v_fma_f64 v[4:5], v[60:61], v[16:17], v[4:5]
	v_fma_f64 v[8:9], v[64:65], v[20:21], v[10:11]
	v_fma_f64 v[10:11], v[66:67], v[20:21], -v[18:19]
	v_fma_f64 v[16:17], v[68:69], v[24:25], v[22:23]
	s_waitcnt vmcnt(16)
	v_mul_f64 v[20:21], v[74:75], v[30:31]
	v_mul_f64 v[22:23], v[72:73], v[30:31]
	v_fma_f64 v[18:19], v[70:71], v[24:25], -v[26:27]
	s_waitcnt vmcnt(15)
	v_mul_f64 v[24:25], v[78:79], v[34:35]
	v_mul_f64 v[26:27], v[76:77], v[34:35]
	v_fma_f64 v[20:21], v[72:73], v[28:29], v[20:21]
	v_fma_f64 v[22:23], v[74:75], v[28:29], -v[22:23]
	v_fma_f64 v[24:25], v[76:77], v[32:33], v[24:25]
	v_fma_f64 v[26:27], v[78:79], v[32:33], -v[26:27]
	s_waitcnt vmcnt(9)
	v_mul_f64 v[30:31], v[82:83], v[38:39]
	v_mul_f64 v[34:35], v[80:81], v[38:39]
	;; [unrolled: 1-line block ×4, first 2 shown]
	v_fma_f64 v[28:29], v[80:81], v[36:37], v[30:31]
	v_fma_f64 v[30:31], v[82:83], v[36:37], -v[34:35]
	v_fma_f64 v[32:33], v[84:85], v[40:41], v[38:39]
	v_fma_f64 v[34:35], v[86:87], v[40:41], -v[42:43]
	ds_write_b128 v103, v[0:3] offset:672
	ds_write_b128 v103, v[4:7] offset:1072
	;; [unrolled: 1-line block ×8, first 2 shown]
	v_mul_f64 v[0:1], v[90:91], v[46:47]
	v_mul_f64 v[2:3], v[88:89], v[46:47]
	;; [unrolled: 1-line block ×6, first 2 shown]
	s_waitcnt vmcnt(7)
	v_mul_f64 v[16:17], v[106:107], v[114:115]
	v_mul_f64 v[18:19], v[104:105], v[114:115]
	s_waitcnt vmcnt(6)
	v_mul_f64 v[20:21], v[110:111], v[118:119]
	v_mul_f64 v[22:23], v[108:109], v[118:119]
	s_waitcnt vmcnt(3)
	v_mul_f64 v[24:25], v[122:123], v[130:131]
	v_mul_f64 v[26:27], v[120:121], v[130:131]
	s_waitcnt vmcnt(2)
	v_mul_f64 v[28:29], v[126:127], v[134:135]
	v_mul_f64 v[30:31], v[124:125], v[134:135]
	s_waitcnt vmcnt(0)
	v_mul_f64 v[32:33], v[138:139], v[14:15]
	v_mul_f64 v[14:15], v[136:137], v[14:15]
	v_fma_f64 v[0:1], v[88:89], v[44:45], v[0:1]
	v_fma_f64 v[2:3], v[90:91], v[44:45], -v[2:3]
	v_fma_f64 v[4:5], v[92:93], v[48:49], v[4:5]
	v_fma_f64 v[6:7], v[94:95], v[48:49], -v[6:7]
	;; [unrolled: 2-line block ×8, first 2 shown]
	ds_write_b128 v103, v[0:3] offset:3872
	ds_write_b128 v103, v[4:7] offset:4272
	;; [unrolled: 1-line block ×8, first 2 shown]
.LBB0_3:
	s_or_b64 exec, exec, s[2:3]
	buffer_store_dword v239, off, s[60:63], 0 offset:672 ; 4-byte Folded Spill
	s_waitcnt lgkmcnt(0)
	; wave barrier
	s_waitcnt lgkmcnt(0)
	ds_read_b128 v[80:83], v103
	ds_read_b128 v[84:87], v103 offset:400
	ds_read_b128 v[72:75], v103 offset:800
	;; [unrolled: 1-line block ×16, first 2 shown]
	s_load_dwordx2 s[2:3], s[4:5], 0x8
                                        ; implicit-def: $vgpr0_vgpr1
                                        ; implicit-def: $vgpr128_vgpr129
                                        ; implicit-def: $vgpr132_vgpr133
                                        ; implicit-def: $vgpr136_vgpr137
                                        ; implicit-def: $vgpr140_vgpr141
                                        ; implicit-def: $vgpr144_vgpr145
                                        ; implicit-def: $vgpr12_vgpr13
                                        ; implicit-def: $vgpr4_vgpr5
                                        ; implicit-def: $vgpr8_vgpr9
                                        ; implicit-def: $vgpr16_vgpr17
                                        ; implicit-def: $vgpr20_vgpr21
                                        ; implicit-def: $vgpr104_vgpr105
                                        ; implicit-def: $vgpr108_vgpr109
                                        ; implicit-def: $vgpr112_vgpr113
                                        ; implicit-def: $vgpr116_vgpr117
                                        ; implicit-def: $vgpr120_vgpr121
                                        ; implicit-def: $vgpr124_vgpr125
	s_and_saveexec_b64 s[0:1], vcc
	s_cbranch_execz .LBB0_5
; %bb.4:
	ds_read_b128 v[0:3], v103 offset:272
	ds_read_b128 v[128:131], v103 offset:672
	;; [unrolled: 1-line block ×17, first 2 shown]
.LBB0_5:
	s_or_b64 exec, exec, s[0:1]
	s_waitcnt lgkmcnt(0)
	v_add_f64 v[92:93], v[80:81], v[84:85]
	v_add_f64 v[94:95], v[82:83], v[86:87]
	v_add_f64 v[160:161], v[86:87], -v[90:91]
	s_mov_b32 s34, 0x5d8e7cdc
	s_mov_b32 s35, 0xbfd71e95
	v_add_f64 v[154:155], v[84:85], v[88:89]
	v_add_f64 v[158:159], v[84:85], -v[88:89]
	v_add_co_u32_e64 v239, s[0:1], 17, v238
	v_add_f64 v[92:93], v[92:93], v[72:73]
	v_add_f64 v[94:95], v[94:95], v[74:75]
	v_mul_f64 v[84:85], v[160:161], s[34:35]
	s_mov_b32 s0, 0x370991
	s_mov_b32 s1, 0x3fedd6d0
	v_add_f64 v[156:157], v[86:87], v[90:91]
	s_mov_b32 s40, 0x2a9d6da3
	s_mov_b32 s38, 0xeb564b22
	v_add_f64 v[92:93], v[92:93], v[64:65]
	v_add_f64 v[94:95], v[94:95], v[66:67]
	v_fma_f64 v[86:87], v[154:155], s[0:1], -v[84:85]
	v_fma_f64 v[84:85], v[154:155], s[0:1], v[84:85]
	s_mov_b32 s41, 0xbfe58eea
	s_mov_b32 s39, 0xbfefdd0d
	v_mul_f64 v[96:97], v[160:161], s[38:39]
	s_mov_b32 s16, 0x75d4884
	v_add_f64 v[92:93], v[92:93], v[56:57]
	v_add_f64 v[94:95], v[94:95], v[58:59]
	;; [unrolled: 1-line block ×3, first 2 shown]
	v_mul_f64 v[86:87], v[158:159], s[34:35]
	s_mov_b32 s12, 0x3259b75e
	s_mov_b32 s17, 0x3fe7a5f6
	;; [unrolled: 1-line block ×3, first 2 shown]
	v_fma_f64 v[99:100], v[154:155], s[12:13], -v[96:97]
	v_add_f64 v[92:93], v[92:93], v[48:49]
	v_add_f64 v[94:95], v[94:95], v[50:51]
	v_fma_f64 v[96:97], v[154:155], s[12:13], v[96:97]
	s_mov_b32 s44, 0x7c9e640b
	s_mov_b32 s26, 0x923c349f
	;; [unrolled: 1-line block ×4, first 2 shown]
	v_add_f64 v[168:169], v[80:81], v[99:100]
	v_add_f64 v[92:93], v[92:93], v[40:41]
	;; [unrolled: 1-line block ×3, first 2 shown]
	v_mul_f64 v[99:100], v[158:159], s[38:39]
	s_mov_b32 s42, 0xacd6c6b4
	s_mov_b32 s45, 0xbfeca52d
	;; [unrolled: 1-line block ×5, first 2 shown]
	v_add_f64 v[92:93], v[92:93], v[32:33]
	v_add_f64 v[94:95], v[94:95], v[34:35]
	s_mov_b32 s43, 0xbfc7851a
	v_fma_f64 v[101:102], v[156:157], s[12:13], v[99:100]
	v_add_f64 v[172:173], v[80:81], v[96:97]
	v_fma_f64 v[96:97], v[156:157], s[12:13], -v[99:100]
	v_mul_f64 v[99:100], v[160:161], s[26:27]
	v_mul_f64 v[178:179], v[160:161], s[28:29]
	v_add_f64 v[92:93], v[92:93], v[24:25]
	v_add_f64 v[94:95], v[94:95], v[26:27]
	v_mul_f64 v[186:187], v[160:161], s[30:31]
	s_mov_b32 s4, 0x2b2883cd
	s_mov_b32 s18, 0xc61f0d01
	;; [unrolled: 1-line block ×5, first 2 shown]
	v_add_f64 v[92:93], v[92:93], v[28:29]
	v_add_f64 v[94:95], v[94:95], v[30:31]
	s_mov_b32 s5, 0x3fdc86fa
	s_mov_b32 s19, 0xbfd183b1
	;; [unrolled: 1-line block ×5, first 2 shown]
	v_add_f64 v[170:171], v[82:83], v[101:102]
	v_add_f64 v[92:93], v[92:93], v[36:37]
	;; [unrolled: 1-line block ×4, first 2 shown]
	v_fma_f64 v[96:97], v[154:155], s[18:19], -v[99:100]
	v_mul_f64 v[101:102], v[158:159], s[26:27]
	v_fma_f64 v[99:100], v[154:155], s[18:19], v[99:100]
	v_fma_f64 v[180:181], v[154:155], s[22:23], -v[178:179]
	v_mul_f64 v[182:183], v[158:159], s[28:29]
	v_add_f64 v[92:93], v[92:93], v[44:45]
	v_add_f64 v[94:95], v[94:95], v[46:47]
	v_fma_f64 v[178:179], v[154:155], s[22:23], v[178:179]
	v_fma_f64 v[188:189], v[154:155], s[20:21], -v[186:187]
	v_mul_f64 v[190:191], v[158:159], s[30:31]
	v_fma_f64 v[186:187], v[154:155], s[20:21], v[186:187]
	v_add_f64 v[176:177], v[80:81], v[96:97]
	v_fma_f64 v[96:97], v[156:157], s[18:19], v[101:102]
	v_add_f64 v[92:93], v[92:93], v[52:53]
	v_add_f64 v[94:95], v[94:95], v[54:55]
	;; [unrolled: 1-line block ×3, first 2 shown]
	v_fma_f64 v[101:102], v[156:157], s[18:19], -v[101:102]
	v_add_f64 v[180:181], v[80:81], v[180:181]
	v_fma_f64 v[184:185], v[156:157], s[22:23], v[182:183]
	v_add_f64 v[178:179], v[80:81], v[178:179]
	v_fma_f64 v[182:183], v[156:157], s[22:23], -v[182:183]
	v_add_f64 v[92:93], v[92:93], v[60:61]
	v_add_f64 v[94:95], v[94:95], v[62:63]
	v_add_f64 v[188:189], v[80:81], v[188:189]
	v_fma_f64 v[192:193], v[156:157], s[20:21], v[190:191]
	v_add_f64 v[186:187], v[80:81], v[186:187]
	v_fma_f64 v[190:191], v[156:157], s[20:21], -v[190:191]
	v_add_f64 v[96:97], v[82:83], v[96:97]
	v_add_f64 v[101:102], v[82:83], v[101:102]
	;; [unrolled: 1-line block ×8, first 2 shown]
	s_mov_b32 s55, 0x3fe0d888
	s_mov_b32 s54, s30
	v_add_f64 v[92:93], v[92:93], v[76:77]
	v_add_f64 v[94:95], v[94:95], v[78:79]
	s_mov_b32 s53, 0x3feec746
	s_mov_b32 s52, s26
	;; [unrolled: 1-line block ×6, first 2 shown]
	v_add_f64 v[92:93], v[92:93], v[88:89]
	v_add_f64 v[94:95], v[94:95], v[90:91]
	v_fma_f64 v[88:89], v[156:157], s[0:1], v[86:87]
	s_mov_b32 s59, 0x3fc7851a
	s_mov_b32 s58, s42
	;; [unrolled: 1-line block ×4, first 2 shown]
	buffer_store_dword v92, off, s[60:63], 0 offset:400 ; 4-byte Folded Spill
	s_nop 0
	buffer_store_dword v93, off, s[60:63], 0 offset:404 ; 4-byte Folded Spill
	buffer_store_dword v94, off, s[60:63], 0 offset:408 ; 4-byte Folded Spill
	;; [unrolled: 1-line block ×3, first 2 shown]
	v_add_f64 v[92:93], v[80:81], v[84:85]
	v_fma_f64 v[84:85], v[156:157], s[0:1], -v[86:87]
	v_add_f64 v[90:91], v[82:83], v[88:89]
	s_mov_b32 s57, 0x3fe9895b
	s_mov_b32 s56, s28
	;; [unrolled: 1-line block ×4, first 2 shown]
	v_add_f64 v[222:223], v[140:141], v[112:113]
	v_add_f64 v[224:225], v[142:143], v[114:115]
	;; [unrolled: 1-line block ×3, first 2 shown]
	v_mul_f64 v[84:85], v[160:161], s[40:41]
	v_add_f64 v[250:251], v[144:145], v[108:109]
	v_add_f64 v[252:253], v[146:147], v[110:111]
	v_add_f64 v[198:199], v[6:7], -v[22:23]
	v_add_f64 v[204:205], v[4:5], v[20:21]
	v_add_f64 v[208:209], v[6:7], v[22:23]
	v_add_f64 v[214:215], v[10:11], -v[18:19]
	v_add_f64 v[240:241], v[8:9], v[16:17]
	v_fma_f64 v[86:87], v[154:155], s[16:17], -v[84:85]
	v_fma_f64 v[84:85], v[154:155], s[16:17], v[84:85]
	v_add_f64 v[202:203], v[8:9], -v[16:17]
	v_mul_f64 v[254:255], v[198:199], s[56:57]
	v_add_f64 v[242:243], v[10:11], v[18:19]
	v_add_f64 v[164:165], v[80:81], v[86:87]
	v_mul_f64 v[86:87], v[158:159], s[40:41]
	v_add_f64 v[150:151], v[80:81], v[84:85]
	v_mul_f64 v[244:245], v[202:203], s[42:43]
	v_fma_f64 v[88:89], v[156:157], s[16:17], v[86:87]
	v_fma_f64 v[84:85], v[156:157], s[16:17], -v[86:87]
	v_mul_f64 v[86:87], v[160:161], s[44:45]
	v_mul_f64 v[160:161], v[160:161], s[42:43]
	v_add_f64 v[148:149], v[82:83], v[88:89]
	v_add_f64 v[152:153], v[82:83], v[84:85]
	v_fma_f64 v[84:85], v[154:155], s[4:5], -v[86:87]
	v_mul_f64 v[88:89], v[158:159], s[44:45]
	v_fma_f64 v[86:87], v[154:155], s[4:5], v[86:87]
	v_fma_f64 v[194:195], v[154:155], s[24:25], -v[160:161]
	v_mul_f64 v[158:159], v[158:159], s[42:43]
	v_fma_f64 v[154:155], v[154:155], s[24:25], v[160:161]
	v_add_f64 v[166:167], v[80:81], v[84:85]
	v_fma_f64 v[84:85], v[156:157], s[4:5], v[88:89]
	v_add_f64 v[86:87], v[80:81], v[86:87]
	v_fma_f64 v[88:89], v[156:157], s[4:5], -v[88:89]
	v_add_f64 v[194:195], v[80:81], v[194:195]
	v_fma_f64 v[196:197], v[156:157], s[24:25], v[158:159]
	v_add_f64 v[80:81], v[80:81], v[154:155]
	v_fma_f64 v[154:155], v[156:157], s[24:25], -v[158:159]
	v_add_f64 v[156:157], v[74:75], v[78:79]
	v_add_f64 v[74:75], v[74:75], -v[78:79]
	v_add_f64 v[84:85], v[82:83], v[84:85]
	v_add_f64 v[88:89], v[82:83], v[88:89]
	;; [unrolled: 1-line block ×5, first 2 shown]
	v_add_f64 v[72:73], v[72:73], -v[76:77]
	v_mul_f64 v[76:77], v[74:75], s[40:41]
	v_mul_f64 v[158:159], v[72:73], s[40:41]
	v_fma_f64 v[78:79], v[154:155], s[16:17], -v[76:77]
	v_fma_f64 v[76:77], v[154:155], s[16:17], v[76:77]
	v_fma_f64 v[160:161], v[156:157], s[16:17], v[158:159]
	v_add_f64 v[78:79], v[78:79], v[162:163]
	v_add_f64 v[76:77], v[76:77], v[92:93]
	v_fma_f64 v[92:93], v[156:157], s[16:17], -v[158:159]
	v_add_f64 v[90:91], v[160:161], v[90:91]
	v_mul_f64 v[160:161], v[72:73], s[38:39]
	v_add_f64 v[92:93], v[92:93], v[94:95]
	v_mul_f64 v[94:95], v[74:75], s[38:39]
	v_fma_f64 v[162:163], v[156:157], s[12:13], v[160:161]
	v_fma_f64 v[158:159], v[154:155], s[12:13], -v[94:95]
	v_fma_f64 v[94:95], v[154:155], s[12:13], v[94:95]
	v_add_f64 v[148:149], v[162:163], v[148:149]
	v_mul_f64 v[162:163], v[72:73], s[28:29]
	v_add_f64 v[158:159], v[158:159], v[164:165]
	v_add_f64 v[94:95], v[94:95], v[150:151]
	v_fma_f64 v[150:151], v[156:157], s[12:13], -v[160:161]
	v_fma_f64 v[164:165], v[156:157], s[22:23], v[162:163]
	v_add_f64 v[150:151], v[150:151], v[152:153]
	v_mul_f64 v[152:153], v[74:75], s[28:29]
	v_add_f64 v[84:85], v[164:165], v[84:85]
	v_mul_f64 v[164:165], v[72:73], s[42:43]
	v_fma_f64 v[160:161], v[154:155], s[22:23], -v[152:153]
	v_fma_f64 v[152:153], v[154:155], s[22:23], v[152:153]
	v_add_f64 v[160:161], v[160:161], v[166:167]
	v_add_f64 v[86:87], v[152:153], v[86:87]
	v_fma_f64 v[152:153], v[156:157], s[22:23], -v[162:163]
	v_fma_f64 v[166:167], v[156:157], s[24:25], v[164:165]
	v_fma_f64 v[164:165], v[156:157], s[24:25], -v[164:165]
	v_add_f64 v[88:89], v[152:153], v[88:89]
	v_mul_f64 v[152:153], v[74:75], s[42:43]
	v_add_f64 v[166:167], v[166:167], v[170:171]
	v_add_f64 v[164:165], v[164:165], v[174:175]
	v_fma_f64 v[162:163], v[154:155], s[24:25], -v[152:153]
	v_fma_f64 v[152:153], v[154:155], s[24:25], v[152:153]
	v_add_f64 v[162:163], v[162:163], v[168:169]
	v_mul_f64 v[168:169], v[74:75], s[54:55]
	v_add_f64 v[152:153], v[152:153], v[172:173]
	v_mul_f64 v[172:173], v[72:73], s[54:55]
	v_fma_f64 v[170:171], v[154:155], s[20:21], -v[168:169]
	v_fma_f64 v[168:169], v[154:155], s[20:21], v[168:169]
	v_fma_f64 v[174:175], v[156:157], s[20:21], v[172:173]
	v_add_f64 v[170:171], v[170:171], v[176:177]
	v_add_f64 v[99:100], v[168:169], v[99:100]
	v_fma_f64 v[168:169], v[156:157], s[20:21], -v[172:173]
	v_add_f64 v[96:97], v[174:175], v[96:97]
	v_mul_f64 v[174:175], v[72:73], s[52:53]
	v_add_f64 v[101:102], v[168:169], v[101:102]
	v_mul_f64 v[168:169], v[74:75], s[52:53]
	v_fma_f64 v[176:177], v[156:157], s[18:19], v[174:175]
	v_fma_f64 v[174:175], v[156:157], s[18:19], -v[174:175]
	v_fma_f64 v[172:173], v[154:155], s[18:19], -v[168:169]
	v_fma_f64 v[168:169], v[154:155], s[18:19], v[168:169]
	v_add_f64 v[174:175], v[174:175], v[182:183]
	v_mul_f64 v[182:183], v[72:73], s[36:37]
	v_mul_f64 v[72:73], v[72:73], s[46:47]
	v_add_f64 v[176:177], v[176:177], v[184:185]
	v_add_f64 v[172:173], v[172:173], v[180:181]
	;; [unrolled: 1-line block ×3, first 2 shown]
	v_mul_f64 v[178:179], v[74:75], s[36:37]
	v_mul_f64 v[74:75], v[74:75], s[46:47]
	v_fma_f64 v[184:185], v[156:157], s[4:5], v[182:183]
	v_fma_f64 v[182:183], v[156:157], s[4:5], -v[182:183]
	v_fma_f64 v[180:181], v[154:155], s[4:5], -v[178:179]
	v_fma_f64 v[178:179], v[154:155], s[4:5], v[178:179]
	v_add_f64 v[184:185], v[184:185], v[192:193]
	v_add_f64 v[182:183], v[182:183], v[190:191]
	;; [unrolled: 1-line block ×3, first 2 shown]
	v_add_f64 v[192:193], v[14:15], -v[106:107]
	v_add_f64 v[180:181], v[180:181], v[188:189]
	v_fma_f64 v[188:189], v[156:157], s[0:1], v[72:73]
	v_fma_f64 v[72:73], v[156:157], s[0:1], -v[72:73]
	v_add_f64 v[178:179], v[178:179], v[186:187]
	v_fma_f64 v[186:187], v[154:155], s[0:1], -v[74:75]
	v_fma_f64 v[74:75], v[154:155], s[0:1], v[74:75]
	v_mul_f64 v[246:247], v[192:193], s[40:41]
	v_add_f64 v[188:189], v[188:189], v[196:197]
	v_add_f64 v[72:73], v[72:73], v[82:83]
	;; [unrolled: 1-line block ×3, first 2 shown]
	v_add_f64 v[66:67], v[66:67], -v[70:71]
	v_add_f64 v[74:75], v[74:75], v[80:81]
	v_add_f64 v[80:81], v[64:65], v[68:69]
	v_add_f64 v[64:65], v[64:65], -v[68:69]
	v_add_f64 v[186:187], v[186:187], v[194:195]
	v_add_f64 v[194:195], v[138:139], v[118:119]
	v_mul_f64 v[68:69], v[66:67], s[44:45]
	v_fma_f64 v[70:71], v[80:81], s[4:5], -v[68:69]
	v_fma_f64 v[68:69], v[80:81], s[4:5], v[68:69]
	v_add_f64 v[70:71], v[70:71], v[78:79]
	v_mul_f64 v[78:79], v[64:65], s[44:45]
	v_add_f64 v[68:69], v[68:69], v[76:77]
	v_fma_f64 v[154:155], v[82:83], s[4:5], v[78:79]
	v_fma_f64 v[76:77], v[82:83], s[4:5], -v[78:79]
	v_mul_f64 v[78:79], v[66:67], s[28:29]
	v_add_f64 v[90:91], v[154:155], v[90:91]
	v_add_f64 v[76:77], v[76:77], v[92:93]
	v_fma_f64 v[92:93], v[80:81], s[22:23], -v[78:79]
	v_mul_f64 v[154:155], v[64:65], s[28:29]
	v_fma_f64 v[78:79], v[80:81], s[22:23], v[78:79]
	v_add_f64 v[92:93], v[92:93], v[158:159]
	v_fma_f64 v[156:157], v[82:83], s[22:23], v[154:155]
	v_add_f64 v[78:79], v[78:79], v[94:95]
	v_fma_f64 v[94:95], v[82:83], s[22:23], -v[154:155]
	v_add_f64 v[148:149], v[156:157], v[148:149]
	v_mul_f64 v[156:157], v[64:65], s[58:59]
	v_add_f64 v[94:95], v[94:95], v[150:151]
	v_mul_f64 v[150:151], v[66:67], s[58:59]
	v_fma_f64 v[158:159], v[82:83], s[24:25], v[156:157]
	v_fma_f64 v[154:155], v[80:81], s[24:25], -v[150:151]
	v_fma_f64 v[150:151], v[80:81], s[24:25], v[150:151]
	v_add_f64 v[84:85], v[158:159], v[84:85]
	v_mul_f64 v[158:159], v[64:65], s[52:53]
	v_add_f64 v[154:155], v[154:155], v[160:161]
	v_add_f64 v[86:87], v[150:151], v[86:87]
	v_fma_f64 v[150:151], v[82:83], s[24:25], -v[156:157]
	v_fma_f64 v[160:161], v[82:83], s[18:19], v[158:159]
	v_add_f64 v[88:89], v[150:151], v[88:89]
	v_mul_f64 v[150:151], v[66:67], s[52:53]
	v_add_f64 v[160:161], v[160:161], v[166:167]
	v_fma_f64 v[156:157], v[80:81], s[18:19], -v[150:151]
	v_fma_f64 v[150:151], v[80:81], s[18:19], v[150:151]
	v_add_f64 v[156:157], v[156:157], v[162:163]
	v_add_f64 v[150:151], v[150:151], v[152:153]
	v_fma_f64 v[152:153], v[82:83], s[18:19], -v[158:159]
	v_mul_f64 v[158:159], v[66:67], s[48:49]
	v_add_f64 v[152:153], v[152:153], v[164:165]
	v_fma_f64 v[162:163], v[80:81], s[16:17], -v[158:159]
	v_mul_f64 v[164:165], v[64:65], s[48:49]
	v_fma_f64 v[158:159], v[80:81], s[16:17], v[158:159]
	v_add_f64 v[162:163], v[162:163], v[170:171]
	v_fma_f64 v[166:167], v[82:83], s[16:17], v[164:165]
	v_add_f64 v[99:100], v[158:159], v[99:100]
	v_fma_f64 v[158:159], v[82:83], s[16:17], -v[164:165]
	v_add_f64 v[96:97], v[166:167], v[96:97]
	v_mul_f64 v[166:167], v[64:65], s[34:35]
	v_add_f64 v[101:102], v[158:159], v[101:102]
	v_mul_f64 v[158:159], v[66:67], s[34:35]
	v_fma_f64 v[170:171], v[82:83], s[0:1], v[166:167]
	v_fma_f64 v[166:167], v[82:83], s[0:1], -v[166:167]
	v_fma_f64 v[164:165], v[80:81], s[0:1], -v[158:159]
	v_fma_f64 v[158:159], v[80:81], s[0:1], v[158:159]
	v_add_f64 v[170:171], v[170:171], v[176:177]
	v_add_f64 v[166:167], v[166:167], v[174:175]
	;; [unrolled: 1-line block ×4, first 2 shown]
	v_mul_f64 v[168:169], v[66:67], s[38:39]
	v_mul_f64 v[66:67], v[66:67], s[30:31]
	;; [unrolled: 1-line block ×4, first 2 shown]
	v_fma_f64 v[172:173], v[80:81], s[12:13], -v[168:169]
	v_fma_f64 v[168:169], v[80:81], s[12:13], v[168:169]
	v_fma_f64 v[176:177], v[82:83], s[12:13], v[174:175]
	v_fma_f64 v[174:175], v[82:83], s[12:13], -v[174:175]
	v_add_f64 v[172:173], v[172:173], v[180:181]
	v_add_f64 v[168:169], v[168:169], v[178:179]
	v_fma_f64 v[178:179], v[80:81], s[20:21], -v[66:67]
	v_fma_f64 v[66:67], v[80:81], s[20:21], v[66:67]
	v_fma_f64 v[180:181], v[82:83], s[20:21], v[64:65]
	v_fma_f64 v[64:65], v[82:83], s[20:21], -v[64:65]
	v_add_f64 v[174:175], v[174:175], v[182:183]
	v_add_f64 v[176:177], v[176:177], v[184:185]
	v_add_f64 v[184:185], v[26:27], -v[30:31]
	v_add_f64 v[178:179], v[178:179], v[186:187]
	v_add_f64 v[66:67], v[66:67], v[74:75]
	;; [unrolled: 1-line block ×3, first 2 shown]
	v_add_f64 v[58:59], v[58:59], -v[62:63]
	v_add_f64 v[64:65], v[64:65], v[72:73]
	v_add_f64 v[72:73], v[56:57], v[60:61]
	v_add_f64 v[56:57], v[56:57], -v[60:61]
	v_add_f64 v[180:181], v[180:181], v[188:189]
	v_add_f64 v[186:187], v[24:25], -v[28:29]
	v_add_f64 v[188:189], v[26:27], v[30:31]
	v_mul_f64 v[60:61], v[58:59], s[38:39]
	v_mul_f64 v[82:83], v[56:57], s[42:43]
	v_fma_f64 v[62:63], v[72:73], s[12:13], -v[60:61]
	v_fma_f64 v[60:61], v[72:73], s[12:13], v[60:61]
	v_add_f64 v[62:63], v[62:63], v[70:71]
	v_mul_f64 v[70:71], v[56:57], s[38:39]
	v_add_f64 v[60:61], v[60:61], v[68:69]
	v_fma_f64 v[80:81], v[74:75], s[12:13], v[70:71]
	v_fma_f64 v[68:69], v[74:75], s[12:13], -v[70:71]
	v_mul_f64 v[70:71], v[58:59], s[42:43]
	v_add_f64 v[80:81], v[80:81], v[90:91]
	v_add_f64 v[68:69], v[68:69], v[76:77]
	v_fma_f64 v[76:77], v[72:73], s[24:25], -v[70:71]
	v_fma_f64 v[70:71], v[72:73], s[24:25], v[70:71]
	v_fma_f64 v[90:91], v[74:75], s[24:25], v[82:83]
	v_add_f64 v[76:77], v[76:77], v[92:93]
	v_add_f64 v[70:71], v[70:71], v[78:79]
	v_fma_f64 v[78:79], v[74:75], s[24:25], -v[82:83]
	v_mul_f64 v[82:83], v[58:59], s[52:53]
	v_add_f64 v[90:91], v[90:91], v[148:149]
	v_add_f64 v[78:79], v[78:79], v[94:95]
	v_fma_f64 v[92:93], v[72:73], s[18:19], -v[82:83]
	v_mul_f64 v[94:95], v[56:57], s[52:53]
	v_fma_f64 v[82:83], v[72:73], s[18:19], v[82:83]
	v_add_f64 v[92:93], v[92:93], v[154:155]
	v_fma_f64 v[148:149], v[74:75], s[18:19], v[94:95]
	v_add_f64 v[82:83], v[82:83], v[86:87]
	v_fma_f64 v[86:87], v[74:75], s[18:19], -v[94:95]
	v_add_f64 v[84:85], v[148:149], v[84:85]
	v_mul_f64 v[148:149], v[56:57], s[46:47]
	v_add_f64 v[86:87], v[86:87], v[88:89]
	v_mul_f64 v[88:89], v[58:59], s[46:47]
	v_fma_f64 v[154:155], v[74:75], s[0:1], v[148:149]
	v_fma_f64 v[148:149], v[74:75], s[0:1], -v[148:149]
	v_fma_f64 v[94:95], v[72:73], s[0:1], -v[88:89]
	v_fma_f64 v[88:89], v[72:73], s[0:1], v[88:89]
	v_add_f64 v[154:155], v[154:155], v[160:161]
	v_add_f64 v[148:149], v[148:149], v[152:153]
	;; [unrolled: 1-line block ×4, first 2 shown]
	v_mul_f64 v[150:151], v[58:59], s[44:45]
	v_mul_f64 v[156:157], v[56:57], s[44:45]
	v_fma_f64 v[152:153], v[72:73], s[4:5], -v[150:151]
	v_fma_f64 v[150:151], v[72:73], s[4:5], v[150:151]
	v_fma_f64 v[160:161], v[74:75], s[4:5], v[156:157]
	v_add_f64 v[152:153], v[152:153], v[162:163]
	v_add_f64 v[99:100], v[150:151], v[99:100]
	v_fma_f64 v[150:151], v[74:75], s[4:5], -v[156:157]
	v_add_f64 v[96:97], v[160:161], v[96:97]
	v_mul_f64 v[160:161], v[56:57], s[30:31]
	v_add_f64 v[101:102], v[150:151], v[101:102]
	v_mul_f64 v[150:151], v[58:59], s[30:31]
	v_fma_f64 v[162:163], v[74:75], s[20:21], v[160:161]
	v_fma_f64 v[156:157], v[72:73], s[20:21], -v[150:151]
	v_fma_f64 v[150:151], v[72:73], s[20:21], v[150:151]
	v_add_f64 v[162:163], v[162:163], v[170:171]
	v_add_f64 v[156:157], v[156:157], v[164:165]
	;; [unrolled: 1-line block ×3, first 2 shown]
	v_fma_f64 v[158:159], v[74:75], s[20:21], -v[160:161]
	v_mul_f64 v[160:161], v[58:59], s[56:57]
	v_mul_f64 v[58:59], v[58:59], s[48:49]
	v_add_f64 v[158:159], v[158:159], v[166:167]
	v_fma_f64 v[164:165], v[72:73], s[22:23], -v[160:161]
	v_fma_f64 v[160:161], v[72:73], s[22:23], v[160:161]
	v_mul_f64 v[166:167], v[56:57], s[56:57]
	v_mul_f64 v[56:57], v[56:57], s[48:49]
	v_add_f64 v[164:165], v[164:165], v[172:173]
	v_add_f64 v[160:161], v[160:161], v[168:169]
	v_fma_f64 v[168:169], v[72:73], s[16:17], -v[58:59]
	v_fma_f64 v[58:59], v[72:73], s[16:17], v[58:59]
	v_fma_f64 v[172:173], v[74:75], s[16:17], v[56:57]
	v_fma_f64 v[56:57], v[74:75], s[16:17], -v[56:57]
	v_fma_f64 v[170:171], v[74:75], s[22:23], v[166:167]
	v_fma_f64 v[166:167], v[74:75], s[22:23], -v[166:167]
	v_add_f64 v[168:169], v[168:169], v[178:179]
	v_add_f64 v[58:59], v[58:59], v[66:67]
	;; [unrolled: 1-line block ×3, first 2 shown]
	v_add_f64 v[50:51], v[50:51], -v[54:55]
	v_add_f64 v[56:57], v[56:57], v[64:65]
	v_add_f64 v[64:65], v[48:49], v[52:53]
	v_add_f64 v[48:49], v[48:49], -v[52:53]
	v_add_f64 v[166:167], v[166:167], v[174:175]
	v_add_f64 v[172:173], v[172:173], v[180:181]
	;; [unrolled: 1-line block ×4, first 2 shown]
	v_mul_f64 v[52:53], v[50:51], s[26:27]
	v_mul_f64 v[24:25], v[184:185], s[42:43]
	;; [unrolled: 1-line block ×3, first 2 shown]
	v_fma_f64 v[54:55], v[64:65], s[18:19], -v[52:53]
	v_fma_f64 v[52:53], v[64:65], s[18:19], v[52:53]
	v_fma_f64 v[26:27], v[180:181], s[24:25], -v[24:25]
	v_fma_f64 v[24:25], v[180:181], s[24:25], v[24:25]
	v_add_f64 v[54:55], v[54:55], v[62:63]
	v_mul_f64 v[62:63], v[48:49], s[26:27]
	v_add_f64 v[52:53], v[52:53], v[60:61]
	v_fma_f64 v[72:73], v[66:67], s[18:19], v[62:63]
	v_fma_f64 v[60:61], v[66:67], s[18:19], -v[62:63]
	v_mul_f64 v[62:63], v[50:51], s[54:55]
	v_add_f64 v[72:73], v[72:73], v[80:81]
	v_add_f64 v[60:61], v[60:61], v[68:69]
	v_fma_f64 v[68:69], v[64:65], s[20:21], -v[62:63]
	v_fma_f64 v[62:63], v[64:65], s[20:21], v[62:63]
	v_mul_f64 v[80:81], v[48:49], s[48:49]
	v_add_f64 v[68:69], v[68:69], v[76:77]
	v_fma_f64 v[76:77], v[66:67], s[20:21], v[74:75]
	v_add_f64 v[62:63], v[62:63], v[70:71]
	v_fma_f64 v[70:71], v[66:67], s[20:21], -v[74:75]
	v_mul_f64 v[74:75], v[50:51], s[48:49]
	v_add_f64 v[76:77], v[76:77], v[90:91]
	v_fma_f64 v[90:91], v[66:67], s[16:17], v[80:81]
	v_add_f64 v[70:71], v[70:71], v[78:79]
	v_fma_f64 v[78:79], v[64:65], s[16:17], -v[74:75]
	v_fma_f64 v[74:75], v[64:65], s[16:17], v[74:75]
	v_fma_f64 v[80:81], v[66:67], s[16:17], -v[80:81]
	v_add_f64 v[84:85], v[90:91], v[84:85]
	v_mul_f64 v[90:91], v[48:49], s[44:45]
	v_add_f64 v[78:79], v[78:79], v[92:93]
	v_add_f64 v[74:75], v[74:75], v[82:83]
	v_mul_f64 v[82:83], v[50:51], s[44:45]
	v_add_f64 v[80:81], v[80:81], v[86:87]
	v_fma_f64 v[92:93], v[66:67], s[4:5], v[90:91]
	v_fma_f64 v[86:87], v[64:65], s[4:5], -v[82:83]
	v_fma_f64 v[82:83], v[64:65], s[4:5], v[82:83]
	v_add_f64 v[92:93], v[92:93], v[154:155]
	v_add_f64 v[86:87], v[86:87], v[94:95]
	;; [unrolled: 1-line block ×3, first 2 shown]
	v_fma_f64 v[88:89], v[66:67], s[4:5], -v[90:91]
	v_mul_f64 v[90:91], v[50:51], s[42:43]
	v_add_f64 v[88:89], v[88:89], v[148:149]
	v_fma_f64 v[94:95], v[64:65], s[24:25], -v[90:91]
	v_mul_f64 v[148:149], v[48:49], s[42:43]
	v_fma_f64 v[90:91], v[64:65], s[24:25], v[90:91]
	v_add_f64 v[94:95], v[94:95], v[152:153]
	v_fma_f64 v[152:153], v[66:67], s[24:25], v[148:149]
	v_add_f64 v[90:91], v[90:91], v[99:100]
	v_fma_f64 v[99:100], v[66:67], s[24:25], -v[148:149]
	v_add_f64 v[96:97], v[152:153], v[96:97]
	v_mul_f64 v[152:153], v[48:49], s[50:51]
	v_add_f64 v[99:100], v[99:100], v[101:102]
	v_mul_f64 v[101:102], v[50:51], s[50:51]
	v_fma_f64 v[154:155], v[66:67], s[12:13], v[152:153]
	v_fma_f64 v[148:149], v[64:65], s[12:13], -v[101:102]
	v_fma_f64 v[101:102], v[64:65], s[12:13], v[101:102]
	v_add_f64 v[154:155], v[154:155], v[162:163]
	v_add_f64 v[148:149], v[148:149], v[156:157]
	;; [unrolled: 1-line block ×3, first 2 shown]
	v_fma_f64 v[150:151], v[66:67], s[12:13], -v[152:153]
	v_mul_f64 v[152:153], v[50:51], s[34:35]
	v_mul_f64 v[50:51], v[50:51], s[28:29]
	v_add_f64 v[150:151], v[150:151], v[158:159]
	v_fma_f64 v[156:157], v[64:65], s[0:1], -v[152:153]
	v_fma_f64 v[152:153], v[64:65], s[0:1], v[152:153]
	v_mul_f64 v[158:159], v[48:49], s[34:35]
	v_mul_f64 v[48:49], v[48:49], s[28:29]
	v_add_f64 v[156:157], v[156:157], v[164:165]
	v_add_f64 v[152:153], v[152:153], v[160:161]
	v_fma_f64 v[160:161], v[64:65], s[22:23], -v[50:51]
	v_fma_f64 v[50:51], v[64:65], s[22:23], v[50:51]
	v_fma_f64 v[164:165], v[66:67], s[22:23], v[48:49]
	v_fma_f64 v[48:49], v[66:67], s[22:23], -v[48:49]
	v_fma_f64 v[162:163], v[66:67], s[0:1], v[158:159]
	v_fma_f64 v[158:159], v[66:67], s[0:1], -v[158:159]
	v_add_f64 v[160:161], v[160:161], v[168:169]
	v_add_f64 v[50:51], v[50:51], v[58:59]
	;; [unrolled: 1-line block ×3, first 2 shown]
	v_add_f64 v[42:43], v[42:43], -v[46:47]
	v_add_f64 v[48:49], v[48:49], v[56:57]
	v_add_f64 v[56:57], v[40:41], v[44:45]
	v_add_f64 v[40:41], v[40:41], -v[44:45]
	v_add_f64 v[158:159], v[158:159], v[166:167]
	v_add_f64 v[162:163], v[162:163], v[170:171]
	;; [unrolled: 1-line block ×3, first 2 shown]
	v_mul_f64 v[44:45], v[42:43], s[28:29]
	v_mul_f64 v[66:67], v[40:41], s[52:53]
	v_fma_f64 v[46:47], v[56:57], s[22:23], -v[44:45]
	v_fma_f64 v[44:45], v[56:57], s[22:23], v[44:45]
	v_add_f64 v[46:47], v[46:47], v[54:55]
	v_mul_f64 v[54:55], v[40:41], s[28:29]
	v_add_f64 v[44:45], v[44:45], v[52:53]
	v_fma_f64 v[64:65], v[58:59], s[22:23], v[54:55]
	v_fma_f64 v[52:53], v[58:59], s[22:23], -v[54:55]
	v_mul_f64 v[54:55], v[42:43], s[52:53]
	v_add_f64 v[64:65], v[64:65], v[72:73]
	v_add_f64 v[52:53], v[52:53], v[60:61]
	v_fma_f64 v[60:61], v[56:57], s[18:19], -v[54:55]
	v_fma_f64 v[54:55], v[56:57], s[18:19], v[54:55]
	v_mul_f64 v[72:73], v[40:41], s[34:35]
	v_add_f64 v[60:61], v[60:61], v[68:69]
	v_fma_f64 v[68:69], v[58:59], s[18:19], v[66:67]
	v_add_f64 v[54:55], v[54:55], v[62:63]
	v_fma_f64 v[62:63], v[58:59], s[18:19], -v[66:67]
	v_mul_f64 v[66:67], v[42:43], s[34:35]
	v_add_f64 v[68:69], v[68:69], v[76:77]
	v_fma_f64 v[76:77], v[58:59], s[0:1], v[72:73]
	v_add_f64 v[62:63], v[62:63], v[70:71]
	v_fma_f64 v[70:71], v[56:57], s[0:1], -v[66:67]
	v_fma_f64 v[66:67], v[56:57], s[0:1], v[66:67]
	v_fma_f64 v[72:73], v[58:59], s[0:1], -v[72:73]
	v_add_f64 v[76:77], v[76:77], v[84:85]
	v_add_f64 v[70:71], v[70:71], v[78:79]
	;; [unrolled: 1-line block ×3, first 2 shown]
	v_mul_f64 v[74:75], v[42:43], s[30:31]
	v_add_f64 v[72:73], v[72:73], v[80:81]
	v_mul_f64 v[80:81], v[40:41], s[30:31]
	v_fma_f64 v[78:79], v[56:57], s[20:21], -v[74:75]
	v_fma_f64 v[74:75], v[56:57], s[20:21], v[74:75]
	v_fma_f64 v[84:85], v[58:59], s[20:21], v[80:81]
	v_fma_f64 v[80:81], v[58:59], s[20:21], -v[80:81]
	v_add_f64 v[78:79], v[78:79], v[86:87]
	v_add_f64 v[74:75], v[74:75], v[82:83]
	v_mul_f64 v[82:83], v[42:43], s[50:51]
	v_add_f64 v[80:81], v[80:81], v[88:89]
	v_mul_f64 v[88:89], v[40:41], s[50:51]
	v_add_f64 v[84:85], v[84:85], v[92:93]
	v_fma_f64 v[86:87], v[56:57], s[12:13], -v[82:83]
	v_fma_f64 v[82:83], v[56:57], s[12:13], v[82:83]
	v_fma_f64 v[92:93], v[58:59], s[12:13], v[88:89]
	v_fma_f64 v[88:89], v[58:59], s[12:13], -v[88:89]
	v_add_f64 v[86:87], v[86:87], v[94:95]
	v_add_f64 v[82:83], v[82:83], v[90:91]
	v_mul_f64 v[90:91], v[42:43], s[40:41]
	v_add_f64 v[92:93], v[92:93], v[96:97]
	v_mul_f64 v[96:97], v[40:41], s[40:41]
	v_add_f64 v[88:89], v[88:89], v[99:100]
	v_fma_f64 v[94:95], v[56:57], s[16:17], -v[90:91]
	v_fma_f64 v[90:91], v[56:57], s[16:17], v[90:91]
	v_fma_f64 v[99:100], v[58:59], s[16:17], v[96:97]
	v_fma_f64 v[96:97], v[58:59], s[16:17], -v[96:97]
	v_add_f64 v[94:95], v[94:95], v[148:149]
	v_add_f64 v[90:91], v[90:91], v[101:102]
	v_mul_f64 v[101:102], v[42:43], s[42:43]
	v_mul_f64 v[42:43], v[42:43], s[36:37]
	v_add_f64 v[96:97], v[96:97], v[150:151]
	v_mul_f64 v[150:151], v[40:41], s[42:43]
	v_mul_f64 v[40:41], v[40:41], s[36:37]
	v_add_f64 v[99:100], v[99:100], v[154:155]
	v_fma_f64 v[148:149], v[56:57], s[24:25], -v[101:102]
	v_fma_f64 v[101:102], v[56:57], s[24:25], v[101:102]
	v_fma_f64 v[154:155], v[58:59], s[24:25], v[150:151]
	v_fma_f64 v[150:151], v[58:59], s[24:25], -v[150:151]
	v_add_f64 v[148:149], v[148:149], v[156:157]
	v_add_f64 v[101:102], v[101:102], v[152:153]
	v_fma_f64 v[152:153], v[56:57], s[4:5], -v[42:43]
	v_fma_f64 v[42:43], v[56:57], s[4:5], v[42:43]
	v_fma_f64 v[156:157], v[58:59], s[4:5], v[40:41]
	v_fma_f64 v[40:41], v[58:59], s[4:5], -v[40:41]
	v_add_f64 v[150:151], v[150:151], v[158:159]
	v_add_f64 v[154:155], v[154:155], v[162:163]
	;; [unrolled: 1-line block ×5, first 2 shown]
	v_add_f64 v[34:35], v[34:35], -v[38:39]
	v_add_f64 v[40:41], v[40:41], v[48:49]
	v_add_f64 v[48:49], v[32:33], v[36:37]
	v_add_f64 v[32:33], v[32:33], -v[36:37]
	v_add_f64 v[156:157], v[156:157], v[164:165]
	v_mul_f64 v[36:37], v[34:35], s[30:31]
	v_mul_f64 v[58:59], v[32:33], s[36:37]
	v_fma_f64 v[38:39], v[48:49], s[20:21], -v[36:37]
	v_fma_f64 v[36:37], v[48:49], s[20:21], v[36:37]
	v_add_f64 v[38:39], v[38:39], v[46:47]
	v_mul_f64 v[46:47], v[32:33], s[30:31]
	v_add_f64 v[36:37], v[36:37], v[44:45]
	v_add_f64 v[28:29], v[26:27], v[38:39]
	v_fma_f64 v[56:57], v[50:51], s[20:21], v[46:47]
	v_fma_f64 v[44:45], v[50:51], s[20:21], -v[46:47]
	v_mul_f64 v[46:47], v[34:35], s[36:37]
	v_add_f64 v[24:25], v[24:25], v[36:37]
	v_mul_f64 v[26:27], v[186:187], s[42:43]
	v_add_f64 v[56:57], v[56:57], v[64:65]
	v_add_f64 v[44:45], v[44:45], v[52:53]
	v_fma_f64 v[52:53], v[48:49], s[4:5], -v[46:47]
	v_fma_f64 v[46:47], v[48:49], s[4:5], v[46:47]
	v_mul_f64 v[64:65], v[32:33], s[38:39]
	v_fma_f64 v[30:31], v[188:189], s[24:25], v[26:27]
	v_fma_f64 v[26:27], v[188:189], s[24:25], -v[26:27]
	v_add_f64 v[52:53], v[52:53], v[60:61]
	v_fma_f64 v[60:61], v[50:51], s[4:5], v[58:59]
	v_add_f64 v[46:47], v[46:47], v[54:55]
	v_fma_f64 v[54:55], v[50:51], s[4:5], -v[58:59]
	v_mul_f64 v[58:59], v[34:35], s[38:39]
	v_add_f64 v[30:31], v[30:31], v[56:57]
	v_add_f64 v[26:27], v[26:27], v[44:45]
	;; [unrolled: 1-line block ×3, first 2 shown]
	v_fma_f64 v[68:69], v[50:51], s[12:13], v[64:65]
	v_add_f64 v[54:55], v[54:55], v[62:63]
	v_fma_f64 v[62:63], v[48:49], s[12:13], -v[58:59]
	v_fma_f64 v[58:59], v[48:49], s[12:13], v[58:59]
	v_fma_f64 v[64:65], v[50:51], s[12:13], -v[64:65]
	v_add_f64 v[68:69], v[68:69], v[76:77]
	v_add_f64 v[62:63], v[62:63], v[70:71]
	;; [unrolled: 1-line block ×3, first 2 shown]
	v_mul_f64 v[66:67], v[34:35], s[56:57]
	v_add_f64 v[64:65], v[64:65], v[72:73]
	v_mul_f64 v[72:73], v[32:33], s[56:57]
	v_fma_f64 v[70:71], v[48:49], s[22:23], -v[66:67]
	v_fma_f64 v[66:67], v[48:49], s[22:23], v[66:67]
	v_fma_f64 v[76:77], v[50:51], s[22:23], v[72:73]
	v_fma_f64 v[72:73], v[50:51], s[22:23], -v[72:73]
	v_add_f64 v[70:71], v[70:71], v[78:79]
	v_add_f64 v[66:67], v[66:67], v[74:75]
	v_mul_f64 v[74:75], v[34:35], s[34:35]
	v_add_f64 v[72:73], v[72:73], v[80:81]
	v_mul_f64 v[80:81], v[32:33], s[34:35]
	v_add_f64 v[76:77], v[76:77], v[84:85]
	v_fma_f64 v[78:79], v[48:49], s[0:1], -v[74:75]
	v_fma_f64 v[74:75], v[48:49], s[0:1], v[74:75]
	v_fma_f64 v[84:85], v[50:51], s[0:1], v[80:81]
	v_fma_f64 v[80:81], v[50:51], s[0:1], -v[80:81]
	v_add_f64 v[78:79], v[78:79], v[86:87]
	v_add_f64 v[74:75], v[74:75], v[82:83]
	v_mul_f64 v[82:83], v[34:35], s[42:43]
	v_add_f64 v[80:81], v[80:81], v[88:89]
	v_mul_f64 v[88:89], v[32:33], s[42:43]
	v_add_f64 v[84:85], v[84:85], v[92:93]
	v_fma_f64 v[86:87], v[48:49], s[24:25], -v[82:83]
	v_fma_f64 v[82:83], v[48:49], s[24:25], v[82:83]
	v_fma_f64 v[92:93], v[50:51], s[24:25], v[88:89]
	v_fma_f64 v[88:89], v[50:51], s[24:25], -v[88:89]
	v_add_f64 v[86:87], v[86:87], v[94:95]
	v_add_f64 v[82:83], v[82:83], v[90:91]
	v_mul_f64 v[90:91], v[34:35], s[48:49]
	v_add_f64 v[88:89], v[88:89], v[96:97]
	v_mul_f64 v[96:97], v[32:33], s[48:49]
	v_mul_f64 v[34:35], v[34:35], s[26:27]
	;; [unrolled: 1-line block ×3, first 2 shown]
	v_add_f64 v[92:93], v[92:93], v[99:100]
	v_fma_f64 v[94:95], v[48:49], s[16:17], -v[90:91]
	v_fma_f64 v[90:91], v[48:49], s[16:17], v[90:91]
	v_fma_f64 v[99:100], v[50:51], s[16:17], v[96:97]
	v_fma_f64 v[96:97], v[50:51], s[16:17], -v[96:97]
	v_add_f64 v[94:95], v[94:95], v[148:149]
	v_add_f64 v[90:91], v[90:91], v[101:102]
	v_fma_f64 v[101:102], v[48:49], s[18:19], -v[34:35]
	v_fma_f64 v[148:149], v[50:51], s[18:19], v[32:33]
	v_fma_f64 v[34:35], v[48:49], s[18:19], v[34:35]
	v_fma_f64 v[32:33], v[50:51], s[18:19], -v[32:33]
	v_mul_f64 v[48:49], v[184:185], s[48:49]
	v_add_f64 v[96:97], v[96:97], v[150:151]
	v_add_f64 v[99:100], v[99:100], v[154:155]
	v_add_f64 v[101:102], v[101:102], v[152:153]
	v_add_f64 v[148:149], v[148:149], v[156:157]
	v_add_f64 v[150:151], v[34:35], v[42:43]
	v_add_f64 v[182:183], v[32:33], v[40:41]
	v_mul_f64 v[32:33], v[184:185], s[46:47]
	v_fma_f64 v[50:51], v[180:181], s[16:17], -v[48:49]
	v_mul_f64 v[40:41], v[184:185], s[30:31]
	v_fma_f64 v[48:49], v[180:181], s[16:17], v[48:49]
	v_fma_f64 v[34:35], v[180:181], s[0:1], -v[32:33]
	v_add_f64 v[152:153], v[50:51], v[70:71]
	v_mul_f64 v[50:51], v[186:187], s[48:49]
	v_fma_f64 v[42:43], v[180:181], s[20:21], -v[40:41]
	v_fma_f64 v[32:33], v[180:181], s[0:1], v[32:33]
	v_fma_f64 v[40:41], v[180:181], s[20:21], v[40:41]
	v_add_f64 v[48:49], v[48:49], v[66:67]
	v_add_f64 v[36:37], v[34:35], v[52:53]
	v_mul_f64 v[34:35], v[186:187], s[46:47]
	v_fma_f64 v[52:53], v[188:189], s[16:17], v[50:51]
	v_add_f64 v[44:45], v[42:43], v[62:63]
	v_mul_f64 v[42:43], v[186:187], s[30:31]
	v_add_f64 v[32:33], v[32:33], v[46:47]
	v_fma_f64 v[50:51], v[188:189], s[16:17], -v[50:51]
	v_add_f64 v[40:41], v[40:41], v[58:59]
	v_add_f64 v[58:59], v[128:129], v[124:125]
	v_fma_f64 v[38:39], v[188:189], s[0:1], v[34:35]
	v_fma_f64 v[34:35], v[188:189], s[0:1], -v[34:35]
	v_add_f64 v[154:155], v[52:53], v[76:77]
	v_mul_f64 v[52:53], v[184:185], s[28:29]
	v_fma_f64 v[46:47], v[188:189], s[20:21], v[42:43]
	v_fma_f64 v[42:43], v[188:189], s[20:21], -v[42:43]
	v_add_f64 v[50:51], v[50:51], v[72:73]
	v_add_f64 v[38:39], v[38:39], v[60:61]
	;; [unrolled: 1-line block ×4, first 2 shown]
	v_fma_f64 v[54:55], v[180:181], s[22:23], -v[52:53]
	v_fma_f64 v[52:53], v[180:181], s[22:23], v[52:53]
	v_add_f64 v[46:47], v[46:47], v[68:69]
	v_add_f64 v[42:43], v[42:43], v[64:65]
	;; [unrolled: 1-line block ×3, first 2 shown]
	v_mul_f64 v[54:55], v[186:187], s[28:29]
	v_add_f64 v[156:157], v[52:53], v[74:75]
	v_fma_f64 v[52:53], v[188:189], s[22:23], -v[54:55]
	v_fma_f64 v[56:57], v[188:189], s[22:23], v[54:55]
	v_add_f64 v[158:159], v[52:53], v[80:81]
	v_mul_f64 v[52:53], v[184:185], s[36:37]
	v_add_f64 v[162:163], v[56:57], v[84:85]
	v_fma_f64 v[54:55], v[180:181], s[4:5], -v[52:53]
	v_fma_f64 v[52:53], v[180:181], s[4:5], v[52:53]
	v_add_f64 v[168:169], v[54:55], v[86:87]
	;; [unrolled: 5-line block ×5, first 2 shown]
	v_mul_f64 v[52:53], v[184:185], s[50:51]
	v_add_f64 v[178:179], v[56:57], v[99:100]
	v_add_f64 v[99:100], v[134:135], -v[122:123]
	v_add_f64 v[96:97], v[132:133], -v[120:121]
	v_fma_f64 v[54:55], v[180:181], s[12:13], -v[52:53]
	v_fma_f64 v[52:53], v[180:181], s[12:13], v[52:53]
	v_add_f64 v[184:185], v[54:55], v[101:102]
	v_mul_f64 v[54:55], v[186:187], s[50:51]
	v_add_f64 v[180:181], v[52:53], v[150:151]
	v_mul_f64 v[101:102], v[99:100], s[40:41]
	v_mul_f64 v[150:151], v[192:193], s[42:43]
	v_fma_f64 v[52:53], v[188:189], s[12:13], -v[54:55]
	v_fma_f64 v[56:57], v[188:189], s[12:13], v[54:55]
	v_add_f64 v[54:55], v[130:131], -v[126:127]
	v_add_f64 v[188:189], v[12:13], -v[104:105]
	v_add_f64 v[182:183], v[52:53], v[182:183]
	v_add_f64 v[52:53], v[128:129], -v[124:125]
	v_add_f64 v[186:187], v[56:57], v[148:149]
	v_mul_f64 v[56:57], v[54:55], s[34:35]
	v_mul_f64 v[64:65], v[54:55], s[40:41]
	;; [unrolled: 1-line block ×4, first 2 shown]
	buffer_store_dword v56, off, s[60:63], 0 offset:416 ; 4-byte Folded Spill
	s_nop 0
	buffer_store_dword v57, off, s[60:63], 0 offset:420 ; 4-byte Folded Spill
	v_mul_f64 v[62:63], v[52:53], s[34:35]
	v_mul_f64 v[66:67], v[52:53], s[40:41]
	;; [unrolled: 1-line block ×3, first 2 shown]
	buffer_store_dword v62, off, s[60:63], 0 offset:432 ; 4-byte Folded Spill
	s_nop 0
	buffer_store_dword v63, off, s[60:63], 0 offset:436 ; 4-byte Folded Spill
	buffer_store_dword v64, off, s[60:63], 0 offset:448 ; 4-byte Folded Spill
	s_nop 0
	buffer_store_dword v65, off, s[60:63], 0 offset:452 ; 4-byte Folded Spill
	;; [unrolled: 3-line block ×5, first 2 shown]
	v_mul_f64 v[74:75], v[52:53], s[38:39]
	buffer_store_dword v72, off, s[60:63], 0 offset:560 ; 4-byte Folded Spill
	s_nop 0
	buffer_store_dword v73, off, s[60:63], 0 offset:564 ; 4-byte Folded Spill
	buffer_store_dword v74, off, s[60:63], 0 offset:576 ; 4-byte Folded Spill
	s_nop 0
	buffer_store_dword v75, off, s[60:63], 0 offset:580 ; 4-byte Folded Spill
	v_mul_f64 v[148:149], v[96:97], s[40:41]
	v_mul_f64 v[218:219], v[188:189], s[40:41]
	v_fma_f64 v[56:57], v[58:59], s[0:1], v[56:57]
	v_add_f64 v[56:57], v[0:1], v[56:57]
	v_fma_f64 v[62:63], v[60:61], s[0:1], -v[62:63]
	v_fma_f64 v[64:65], v[58:59], s[16:17], v[64:65]
	v_fma_f64 v[66:67], v[60:61], s[16:17], -v[66:67]
	v_fma_f64 v[68:69], v[58:59], s[4:5], v[68:69]
	;; [unrolled: 2-line block ×3, first 2 shown]
	v_add_f64 v[62:63], v[2:3], v[62:63]
	v_add_f64 v[64:65], v[0:1], v[64:65]
	;; [unrolled: 1-line block ×6, first 2 shown]
	v_fma_f64 v[72:73], v[60:61], s[12:13], -v[74:75]
	v_mul_f64 v[74:75], v[52:53], s[26:27]
	v_add_f64 v[78:79], v[2:3], v[72:73]
	v_mul_f64 v[72:73], v[54:55], s[26:27]
	buffer_store_dword v72, off, s[60:63], 0 offset:592 ; 4-byte Folded Spill
	s_nop 0
	buffer_store_dword v73, off, s[60:63], 0 offset:596 ; 4-byte Folded Spill
	buffer_store_dword v74, off, s[60:63], 0 offset:624 ; 4-byte Folded Spill
	s_nop 0
	buffer_store_dword v75, off, s[60:63], 0 offset:628 ; 4-byte Folded Spill
	v_fma_f64 v[72:73], v[58:59], s[18:19], v[72:73]
	v_add_f64 v[80:81], v[0:1], v[72:73]
	v_fma_f64 v[72:73], v[60:61], s[18:19], -v[74:75]
	v_mul_f64 v[74:75], v[52:53], s[28:29]
	v_add_f64 v[82:83], v[2:3], v[72:73]
	v_mul_f64 v[72:73], v[54:55], s[28:29]
	buffer_store_dword v72, off, s[60:63], 0 offset:656 ; 4-byte Folded Spill
	s_nop 0
	buffer_store_dword v73, off, s[60:63], 0 offset:660 ; 4-byte Folded Spill
	buffer_store_dword v74, off, s[60:63], 0 offset:724 ; 4-byte Folded Spill
	s_nop 0
	buffer_store_dword v75, off, s[60:63], 0 offset:728 ; 4-byte Folded Spill
	v_fma_f64 v[72:73], v[58:59], s[22:23], v[72:73]
	v_add_f64 v[84:85], v[0:1], v[72:73]
	v_fma_f64 v[72:73], v[60:61], s[22:23], -v[74:75]
	v_mul_f64 v[74:75], v[52:53], s[30:31]
	v_mul_f64 v[52:53], v[52:53], s[42:43]
	v_add_f64 v[86:87], v[2:3], v[72:73]
	v_mul_f64 v[72:73], v[54:55], s[30:31]
	buffer_store_dword v72, off, s[60:63], 0 offset:756 ; 4-byte Folded Spill
	s_nop 0
	buffer_store_dword v73, off, s[60:63], 0 offset:760 ; 4-byte Folded Spill
	buffer_store_dword v74, off, s[60:63], 0 offset:772 ; 4-byte Folded Spill
	s_nop 0
	buffer_store_dword v75, off, s[60:63], 0 offset:776 ; 4-byte Folded Spill
	;; [unrolled: 3-line block ×4, first 2 shown]
	v_mul_f64 v[54:55], v[54:55], s[42:43]
	v_fma_f64 v[72:73], v[58:59], s[20:21], v[72:73]
	v_add_f64 v[88:89], v[0:1], v[72:73]
	v_fma_f64 v[72:73], v[60:61], s[20:21], -v[74:75]
	v_add_f64 v[74:75], v[134:135], v[122:123]
	v_add_f64 v[90:91], v[2:3], v[72:73]
	v_fma_f64 v[72:73], v[58:59], s[24:25], -v[54:55]
	v_fma_f64 v[54:55], v[58:59], s[24:25], v[54:55]
	v_add_f64 v[92:93], v[0:1], v[72:73]
	v_fma_f64 v[72:73], v[60:61], s[24:25], v[52:53]
	v_add_f64 v[54:55], v[0:1], v[54:55]
	v_fma_f64 v[52:53], v[60:61], s[24:25], -v[52:53]
	v_add_f64 v[94:95], v[2:3], v[72:73]
	v_add_f64 v[72:73], v[132:133], v[120:121]
	;; [unrolled: 1-line block ×3, first 2 shown]
	v_fma_f64 v[101:102], v[72:73], s[16:17], v[101:102]
	v_add_f64 v[56:57], v[101:102], v[56:57]
	v_fma_f64 v[101:102], v[74:75], s[16:17], -v[148:149]
	v_mul_f64 v[148:149], v[96:97], s[38:39]
	v_add_f64 v[62:63], v[101:102], v[62:63]
	v_mul_f64 v[101:102], v[99:100], s[38:39]
	buffer_store_dword v101, off, s[60:63], 0 offset:528 ; 4-byte Folded Spill
	s_nop 0
	buffer_store_dword v102, off, s[60:63], 0 offset:532 ; 4-byte Folded Spill
	buffer_store_dword v148, off, s[60:63], 0 offset:608 ; 4-byte Folded Spill
	s_nop 0
	buffer_store_dword v149, off, s[60:63], 0 offset:612 ; 4-byte Folded Spill
	v_fma_f64 v[101:102], v[72:73], s[12:13], v[101:102]
	v_add_f64 v[64:65], v[101:102], v[64:65]
	v_fma_f64 v[101:102], v[74:75], s[12:13], -v[148:149]
	v_mul_f64 v[148:149], v[96:97], s[28:29]
	v_add_f64 v[66:67], v[101:102], v[66:67]
	v_mul_f64 v[101:102], v[99:100], s[28:29]
	buffer_store_dword v101, off, s[60:63], 0 offset:640 ; 4-byte Folded Spill
	s_nop 0
	buffer_store_dword v102, off, s[60:63], 0 offset:644 ; 4-byte Folded Spill
	buffer_store_dword v148, off, s[60:63], 0 offset:740 ; 4-byte Folded Spill
	s_nop 0
	buffer_store_dword v149, off, s[60:63], 0 offset:744 ; 4-byte Folded Spill
	;; [unrolled: 12-line block ×5, first 2 shown]
	v_fma_f64 v[101:102], v[72:73], s[18:19], v[101:102]
	v_add_f64 v[84:85], v[101:102], v[84:85]
	v_fma_f64 v[101:102], v[74:75], s[18:19], -v[148:149]
	v_mul_f64 v[148:149], v[96:97], s[36:37]
	v_mul_f64 v[96:97], v[96:97], s[46:47]
	v_add_f64 v[86:87], v[101:102], v[86:87]
	v_mul_f64 v[101:102], v[99:100], s[36:37]
	buffer_store_dword v101, off, s[60:63], 0 offset:940 ; 4-byte Folded Spill
	s_nop 0
	buffer_store_dword v102, off, s[60:63], 0 offset:944 ; 4-byte Folded Spill
	buffer_store_dword v148, off, s[60:63], 0 offset:956 ; 4-byte Folded Spill
	s_nop 0
	buffer_store_dword v149, off, s[60:63], 0 offset:960 ; 4-byte Folded Spill
	v_mul_f64 v[99:100], v[99:100], s[46:47]
	v_fma_f64 v[101:102], v[72:73], s[4:5], v[101:102]
	v_add_f64 v[88:89], v[101:102], v[88:89]
	v_fma_f64 v[101:102], v[74:75], s[4:5], -v[148:149]
	v_add_f64 v[90:91], v[101:102], v[90:91]
	v_fma_f64 v[101:102], v[72:73], s[0:1], -v[99:100]
	v_fma_f64 v[99:100], v[72:73], s[0:1], v[99:100]
	v_add_f64 v[92:93], v[101:102], v[92:93]
	v_fma_f64 v[101:102], v[74:75], s[0:1], v[96:97]
	v_add_f64 v[54:55], v[99:100], v[54:55]
	v_fma_f64 v[96:97], v[74:75], s[0:1], -v[96:97]
	v_add_f64 v[99:100], v[138:139], -v[118:119]
	v_add_f64 v[94:95], v[101:102], v[94:95]
	v_add_f64 v[52:53], v[96:97], v[52:53]
	v_add_f64 v[96:97], v[136:137], -v[116:117]
	v_mul_f64 v[101:102], v[99:100], s[44:45]
	buffer_store_dword v101, off, s[60:63], 0 offset:676 ; 4-byte Folded Spill
	s_nop 0
	buffer_store_dword v102, off, s[60:63], 0 offset:680 ; 4-byte Folded Spill
	v_mul_f64 v[148:149], v[96:97], s[44:45]
	buffer_store_dword v148, off, s[60:63], 0 offset:692 ; 4-byte Folded Spill
	s_nop 0
	buffer_store_dword v149, off, s[60:63], 0 offset:696 ; 4-byte Folded Spill
	v_fma_f64 v[101:102], v[190:191], s[4:5], v[101:102]
	v_add_f64 v[56:57], v[101:102], v[56:57]
	v_fma_f64 v[101:102], v[194:195], s[4:5], -v[148:149]
	v_mul_f64 v[148:149], v[96:97], s[28:29]
	v_add_f64 v[62:63], v[101:102], v[62:63]
	v_mul_f64 v[101:102], v[99:100], s[28:29]
	buffer_store_dword v101, off, s[60:63], 0 offset:708 ; 4-byte Folded Spill
	s_nop 0
	buffer_store_dword v102, off, s[60:63], 0 offset:712 ; 4-byte Folded Spill
	buffer_store_dword v148, off, s[60:63], 0 offset:820 ; 4-byte Folded Spill
	s_nop 0
	buffer_store_dword v149, off, s[60:63], 0 offset:824 ; 4-byte Folded Spill
	v_fma_f64 v[101:102], v[190:191], s[22:23], v[101:102]
	v_add_f64 v[64:65], v[101:102], v[64:65]
	v_fma_f64 v[101:102], v[194:195], s[22:23], -v[148:149]
	v_mul_f64 v[148:149], v[96:97], s[58:59]
	v_add_f64 v[66:67], v[101:102], v[66:67]
	v_mul_f64 v[101:102], v[99:100], s[58:59]
	buffer_store_dword v101, off, s[60:63], 0 offset:844 ; 4-byte Folded Spill
	s_nop 0
	buffer_store_dword v102, off, s[60:63], 0 offset:848 ; 4-byte Folded Spill
	;; [unrolled: 12-line block ×5, first 2 shown]
	buffer_store_dword v148, off, s[60:63], 0 offset:1044 ; 4-byte Folded Spill
	s_nop 0
	buffer_store_dword v149, off, s[60:63], 0 offset:1048 ; 4-byte Folded Spill
	v_fma_f64 v[101:102], v[190:191], s[0:1], v[101:102]
	v_add_f64 v[84:85], v[101:102], v[84:85]
	v_fma_f64 v[101:102], v[194:195], s[0:1], -v[148:149]
	v_mul_f64 v[148:149], v[96:97], s[38:39]
	v_mul_f64 v[96:97], v[96:97], s[30:31]
	v_add_f64 v[86:87], v[101:102], v[86:87]
	v_mul_f64 v[101:102], v[99:100], s[38:39]
	buffer_store_dword v101, off, s[60:63], 0 offset:1060 ; 4-byte Folded Spill
	s_nop 0
	buffer_store_dword v102, off, s[60:63], 0 offset:1064 ; 4-byte Folded Spill
	buffer_store_dword v148, off, s[60:63], 0 offset:1076 ; 4-byte Folded Spill
	s_nop 0
	buffer_store_dword v149, off, s[60:63], 0 offset:1080 ; 4-byte Folded Spill
	v_mul_f64 v[99:100], v[99:100], s[30:31]
	v_fma_f64 v[101:102], v[190:191], s[12:13], v[101:102]
	v_add_f64 v[88:89], v[101:102], v[88:89]
	v_fma_f64 v[101:102], v[194:195], s[12:13], -v[148:149]
	v_add_f64 v[90:91], v[101:102], v[90:91]
	v_fma_f64 v[101:102], v[190:191], s[20:21], -v[99:100]
	v_fma_f64 v[99:100], v[190:191], s[20:21], v[99:100]
	v_add_f64 v[92:93], v[101:102], v[92:93]
	v_fma_f64 v[101:102], v[194:195], s[20:21], v[96:97]
	v_add_f64 v[54:55], v[99:100], v[54:55]
	v_fma_f64 v[96:97], v[194:195], s[20:21], -v[96:97]
	v_add_f64 v[99:100], v[142:143], -v[114:115]
	v_add_f64 v[94:95], v[101:102], v[94:95]
	v_add_f64 v[52:53], v[96:97], v[52:53]
	v_add_f64 v[96:97], v[140:141], -v[112:113]
	v_mul_f64 v[101:102], v[99:100], s[38:39]
	buffer_store_dword v101, off, s[60:63], 0 offset:892 ; 4-byte Folded Spill
	s_nop 0
	buffer_store_dword v102, off, s[60:63], 0 offset:896 ; 4-byte Folded Spill
	v_mul_f64 v[148:149], v[96:97], s[38:39]
	buffer_store_dword v148, off, s[60:63], 0 offset:908 ; 4-byte Folded Spill
	s_nop 0
	buffer_store_dword v149, off, s[60:63], 0 offset:912 ; 4-byte Folded Spill
	v_fma_f64 v[101:102], v[222:223], s[12:13], v[101:102]
	v_add_f64 v[56:57], v[101:102], v[56:57]
	v_fma_f64 v[101:102], v[224:225], s[12:13], -v[148:149]
	v_mul_f64 v[148:149], v[96:97], s[42:43]
	v_add_f64 v[62:63], v[101:102], v[62:63]
	v_mul_f64 v[101:102], v[99:100], s[42:43]
	buffer_store_dword v101, off, s[60:63], 0 offset:924 ; 4-byte Folded Spill
	s_nop 0
	buffer_store_dword v102, off, s[60:63], 0 offset:928 ; 4-byte Folded Spill
	buffer_store_dword v148, off, s[60:63], 0 offset:980 ; 4-byte Folded Spill
	s_nop 0
	buffer_store_dword v149, off, s[60:63], 0 offset:984 ; 4-byte Folded Spill
	v_fma_f64 v[101:102], v[222:223], s[24:25], v[101:102]
	v_add_f64 v[64:65], v[101:102], v[64:65]
	v_fma_f64 v[101:102], v[224:225], s[24:25], -v[148:149]
	v_mul_f64 v[148:149], v[96:97], s[52:53]
	v_add_f64 v[66:67], v[101:102], v[66:67]
	v_mul_f64 v[101:102], v[99:100], s[52:53]
	buffer_store_dword v101, off, s[60:63], 0 offset:1012 ; 4-byte Folded Spill
	s_nop 0
	buffer_store_dword v102, off, s[60:63], 0 offset:1016 ; 4-byte Folded Spill
	;; [unrolled: 12-line block ×5, first 2 shown]
	buffer_store_dword v148, off, s[60:63], 0 offset:1156 ; 4-byte Folded Spill
	s_nop 0
	buffer_store_dword v149, off, s[60:63], 0 offset:1160 ; 4-byte Folded Spill
	v_fma_f64 v[101:102], v[222:223], s[20:21], v[101:102]
	v_add_f64 v[84:85], v[101:102], v[84:85]
	v_fma_f64 v[101:102], v[224:225], s[20:21], -v[148:149]
	v_mul_f64 v[148:149], v[96:97], s[56:57]
	v_mul_f64 v[96:97], v[96:97], s[48:49]
	v_add_f64 v[86:87], v[101:102], v[86:87]
	v_mul_f64 v[101:102], v[99:100], s[56:57]
	buffer_store_dword v101, off, s[60:63], 0 offset:1180 ; 4-byte Folded Spill
	s_nop 0
	buffer_store_dword v102, off, s[60:63], 0 offset:1184 ; 4-byte Folded Spill
	buffer_store_dword v148, off, s[60:63], 0 offset:1196 ; 4-byte Folded Spill
	s_nop 0
	buffer_store_dword v149, off, s[60:63], 0 offset:1200 ; 4-byte Folded Spill
	v_mul_f64 v[99:100], v[99:100], s[48:49]
	v_fma_f64 v[101:102], v[222:223], s[22:23], v[101:102]
	v_add_f64 v[88:89], v[101:102], v[88:89]
	v_fma_f64 v[101:102], v[224:225], s[22:23], -v[148:149]
	v_add_f64 v[90:91], v[101:102], v[90:91]
	v_fma_f64 v[101:102], v[222:223], s[16:17], -v[99:100]
	v_fma_f64 v[99:100], v[222:223], s[16:17], v[99:100]
	v_add_f64 v[92:93], v[101:102], v[92:93]
	v_fma_f64 v[101:102], v[224:225], s[16:17], v[96:97]
	v_add_f64 v[54:55], v[99:100], v[54:55]
	v_fma_f64 v[96:97], v[224:225], s[16:17], -v[96:97]
	v_add_f64 v[99:100], v[146:147], -v[110:111]
	v_add_f64 v[94:95], v[101:102], v[94:95]
	v_add_f64 v[52:53], v[96:97], v[52:53]
	v_add_f64 v[96:97], v[144:145], -v[108:109]
	v_mul_f64 v[101:102], v[99:100], s[26:27]
	buffer_store_dword v101, off, s[60:63], 0 offset:1004 ; 4-byte Folded Spill
	s_nop 0
	buffer_store_dword v102, off, s[60:63], 0 offset:1008 ; 4-byte Folded Spill
	v_mul_f64 v[148:149], v[96:97], s[26:27]
	buffer_store_dword v148, off, s[60:63], 0 offset:1020 ; 4-byte Folded Spill
	s_nop 0
	buffer_store_dword v149, off, s[60:63], 0 offset:1024 ; 4-byte Folded Spill
	v_fma_f64 v[101:102], v[250:251], s[18:19], v[101:102]
	v_add_f64 v[56:57], v[101:102], v[56:57]
	v_fma_f64 v[101:102], v[252:253], s[18:19], -v[148:149]
	v_mul_f64 v[148:149], v[96:97], s[54:55]
	v_add_f64 v[62:63], v[101:102], v[62:63]
	v_mul_f64 v[101:102], v[99:100], s[54:55]
	buffer_store_dword v101, off, s[60:63], 0 offset:1036 ; 4-byte Folded Spill
	s_nop 0
	buffer_store_dword v102, off, s[60:63], 0 offset:1040 ; 4-byte Folded Spill
	buffer_store_dword v148, off, s[60:63], 0 offset:1084 ; 4-byte Folded Spill
	s_nop 0
	buffer_store_dword v149, off, s[60:63], 0 offset:1088 ; 4-byte Folded Spill
	v_fma_f64 v[101:102], v[250:251], s[20:21], v[101:102]
	v_add_f64 v[64:65], v[101:102], v[64:65]
	v_fma_f64 v[101:102], v[252:253], s[20:21], -v[148:149]
	v_mul_f64 v[148:149], v[96:97], s[48:49]
	v_add_f64 v[66:67], v[101:102], v[66:67]
	v_mul_f64 v[101:102], v[99:100], s[48:49]
	buffer_store_dword v101, off, s[60:63], 0 offset:1148 ; 4-byte Folded Spill
	s_nop 0
	buffer_store_dword v102, off, s[60:63], 0 offset:1152 ; 4-byte Folded Spill
	;; [unrolled: 12-line block ×3, first 2 shown]
	buffer_store_dword v148, off, s[60:63], 0 offset:1212 ; 4-byte Folded Spill
	s_nop 0
	buffer_store_dword v149, off, s[60:63], 0 offset:1216 ; 4-byte Folded Spill
	v_fma_f64 v[101:102], v[250:251], s[4:5], v[101:102]
	v_add_f64 v[101:102], v[101:102], v[76:77]
	v_fma_f64 v[76:77], v[252:253], s[4:5], -v[148:149]
	v_add_f64 v[148:149], v[76:77], v[78:79]
	v_mul_f64 v[76:77], v[99:100], s[42:43]
	v_mul_f64 v[78:79], v[96:97], s[42:43]
	buffer_store_dword v76, off, s[60:63], 0 offset:1220 ; 4-byte Folded Spill
	s_nop 0
	buffer_store_dword v77, off, s[60:63], 0 offset:1224 ; 4-byte Folded Spill
	buffer_store_dword v78, off, s[60:63], 0 offset:1228 ; 4-byte Folded Spill
	s_nop 0
	buffer_store_dword v79, off, s[60:63], 0 offset:1232 ; 4-byte Folded Spill
	v_fma_f64 v[76:77], v[250:251], s[24:25], v[76:77]
	v_add_f64 v[80:81], v[76:77], v[80:81]
	v_fma_f64 v[76:77], v[252:253], s[24:25], -v[78:79]
	v_mul_f64 v[78:79], v[96:97], s[50:51]
	v_add_f64 v[82:83], v[76:77], v[82:83]
	v_mul_f64 v[76:77], v[99:100], s[50:51]
	buffer_store_dword v76, off, s[60:63], 0 offset:1260 ; 4-byte Folded Spill
	s_nop 0
	buffer_store_dword v77, off, s[60:63], 0 offset:1264 ; 4-byte Folded Spill
	buffer_store_dword v78, off, s[60:63], 0 offset:1268 ; 4-byte Folded Spill
	s_nop 0
	buffer_store_dword v79, off, s[60:63], 0 offset:1272 ; 4-byte Folded Spill
	v_fma_f64 v[76:77], v[250:251], s[12:13], v[76:77]
	v_add_f64 v[84:85], v[76:77], v[84:85]
	v_fma_f64 v[76:77], v[252:253], s[12:13], -v[78:79]
	v_mul_f64 v[78:79], v[96:97], s[34:35]
	v_add_f64 v[86:87], v[76:77], v[86:87]
	v_mul_f64 v[76:77], v[99:100], s[34:35]
	buffer_store_dword v76, off, s[60:63], 0 offset:1300 ; 4-byte Folded Spill
	s_nop 0
	buffer_store_dword v77, off, s[60:63], 0 offset:1304 ; 4-byte Folded Spill
	buffer_store_dword v78, off, s[60:63], 0 offset:1308 ; 4-byte Folded Spill
	s_nop 0
	buffer_store_dword v79, off, s[60:63], 0 offset:1312 ; 4-byte Folded Spill
	v_fma_f64 v[76:77], v[250:251], s[0:1], v[76:77]
	v_add_f64 v[88:89], v[76:77], v[88:89]
	v_fma_f64 v[76:77], v[252:253], s[0:1], -v[78:79]
	v_add_f64 v[90:91], v[76:77], v[90:91]
	v_mul_f64 v[76:77], v[99:100], s[28:29]
	v_mul_f64 v[99:100], v[188:189], s[28:29]
	v_fma_f64 v[78:79], v[250:251], s[22:23], -v[76:77]
	v_fma_f64 v[76:77], v[250:251], s[22:23], v[76:77]
	v_add_f64 v[92:93], v[78:79], v[92:93]
	v_mul_f64 v[78:79], v[96:97], s[28:29]
	v_fma_f64 v[96:97], v[252:253], s[22:23], v[78:79]
	v_add_f64 v[94:95], v[96:97], v[94:95]
	v_add_f64 v[96:97], v[76:77], v[54:55]
	v_fma_f64 v[54:55], v[252:253], s[22:23], -v[78:79]
	v_add_f64 v[76:77], v[12:13], v[104:105]
	v_add_f64 v[78:79], v[14:15], v[106:107]
	;; [unrolled: 1-line block ×3, first 2 shown]
	v_mul_f64 v[54:55], v[192:193], s[28:29]
	buffer_store_dword v54, off, s[60:63], 0 offset:1116 ; 4-byte Folded Spill
	s_nop 0
	buffer_store_dword v55, off, s[60:63], 0 offset:1120 ; 4-byte Folded Spill
	buffer_store_dword v99, off, s[60:63], 0 offset:1124 ; 4-byte Folded Spill
	s_nop 0
	buffer_store_dword v100, off, s[60:63], 0 offset:1128 ; 4-byte Folded Spill
	v_fma_f64 v[196:197], v[76:77], s[24:25], v[150:151]
	v_add_f64 v[88:89], v[196:197], v[88:89]
	v_fma_f64 v[54:55], v[76:77], s[22:23], v[54:55]
	v_add_f64 v[56:57], v[54:55], v[56:57]
	v_fma_f64 v[54:55], v[78:79], s[22:23], -v[99:100]
	v_mul_f64 v[99:100], v[188:189], s[52:53]
	v_add_f64 v[62:63], v[54:55], v[62:63]
	v_mul_f64 v[54:55], v[192:193], s[52:53]
	buffer_store_dword v54, off, s[60:63], 0 offset:1140 ; 4-byte Folded Spill
	s_nop 0
	buffer_store_dword v55, off, s[60:63], 0 offset:1144 ; 4-byte Folded Spill
	buffer_store_dword v99, off, s[60:63], 0 offset:1204 ; 4-byte Folded Spill
	s_nop 0
	buffer_store_dword v100, off, s[60:63], 0 offset:1208 ; 4-byte Folded Spill
	v_fma_f64 v[54:55], v[76:77], s[18:19], v[54:55]
	v_add_f64 v[64:65], v[54:55], v[64:65]
	v_fma_f64 v[54:55], v[78:79], s[18:19], -v[99:100]
	v_mul_f64 v[99:100], v[188:189], s[34:35]
	v_add_f64 v[66:67], v[54:55], v[66:67]
	v_mul_f64 v[54:55], v[192:193], s[34:35]
	buffer_store_dword v54, off, s[60:63], 0 offset:1172 ; 4-byte Folded Spill
	s_nop 0
	buffer_store_dword v55, off, s[60:63], 0 offset:1176 ; 4-byte Folded Spill
	buffer_store_dword v99, off, s[60:63], 0 offset:1276 ; 4-byte Folded Spill
	s_nop 0
	buffer_store_dword v100, off, s[60:63], 0 offset:1280 ; 4-byte Folded Spill
	;; [unrolled: 12-line block ×3, first 2 shown]
	v_fma_f64 v[54:55], v[76:77], s[20:21], v[54:55]
	v_add_f64 v[101:102], v[54:55], v[101:102]
	v_fma_f64 v[54:55], v[78:79], s[20:21], -v[99:100]
	v_mul_f64 v[99:100], v[188:189], s[50:51]
	v_add_f64 v[148:149], v[54:55], v[148:149]
	v_mul_f64 v[54:55], v[192:193], s[50:51]
	buffer_store_dword v54, off, s[60:63], 0 offset:1332 ; 4-byte Folded Spill
	s_nop 0
	buffer_store_dword v55, off, s[60:63], 0 offset:1336 ; 4-byte Folded Spill
	v_mul_f64 v[192:193], v[192:193], s[36:37]
	v_fma_f64 v[54:55], v[76:77], s[12:13], v[54:55]
	v_add_f64 v[80:81], v[54:55], v[80:81]
	v_fma_f64 v[54:55], v[78:79], s[12:13], -v[99:100]
	v_add_f64 v[82:83], v[54:55], v[82:83]
	v_fma_f64 v[54:55], v[76:77], s[16:17], v[246:247]
	v_add_f64 v[84:85], v[54:55], v[84:85]
	v_fma_f64 v[54:55], v[78:79], s[16:17], -v[218:219]
	v_add_f64 v[86:87], v[54:55], v[86:87]
	v_mul_f64 v[54:55], v[188:189], s[42:43]
	v_mul_f64 v[188:189], v[188:189], s[36:37]
	v_fma_f64 v[196:197], v[78:79], s[24:25], -v[54:55]
	v_add_f64 v[90:91], v[196:197], v[90:91]
	v_fma_f64 v[196:197], v[76:77], s[4:5], -v[192:193]
	v_fma_f64 v[192:193], v[76:77], s[4:5], v[192:193]
	v_add_f64 v[92:93], v[196:197], v[92:93]
	v_fma_f64 v[196:197], v[78:79], s[4:5], v[188:189]
	v_fma_f64 v[188:189], v[78:79], s[4:5], -v[188:189]
	v_add_f64 v[96:97], v[192:193], v[96:97]
	v_mul_f64 v[192:193], v[198:199], s[30:31]
	buffer_store_dword v192, off, s[60:63], 0 offset:1236 ; 4-byte Folded Spill
	s_nop 0
	buffer_store_dword v193, off, s[60:63], 0 offset:1240 ; 4-byte Folded Spill
	v_add_f64 v[52:53], v[188:189], v[52:53]
	v_add_f64 v[188:189], v[4:5], -v[20:21]
	v_add_f64 v[94:95], v[196:197], v[94:95]
	v_mul_f64 v[196:197], v[188:189], s[30:31]
	buffer_store_dword v196, off, s[60:63], 0 offset:1244 ; 4-byte Folded Spill
	s_nop 0
	buffer_store_dword v197, off, s[60:63], 0 offset:1248 ; 4-byte Folded Spill
	v_mul_f64 v[248:249], v[188:189], s[38:39]
	v_fma_f64 v[192:193], v[204:205], s[20:21], v[192:193]
	v_add_f64 v[220:221], v[192:193], v[56:57]
	v_fma_f64 v[56:57], v[208:209], s[20:21], -v[196:197]
	v_add_f64 v[226:227], v[56:57], v[62:63]
	v_mul_f64 v[56:57], v[198:199], s[36:37]
	v_mul_f64 v[62:63], v[188:189], s[36:37]
	buffer_store_dword v56, off, s[60:63], 0 offset:1252 ; 4-byte Folded Spill
	s_nop 0
	buffer_store_dword v57, off, s[60:63], 0 offset:1256 ; 4-byte Folded Spill
	buffer_store_dword v62, off, s[60:63], 0 offset:1284 ; 4-byte Folded Spill
	s_nop 0
	buffer_store_dword v63, off, s[60:63], 0 offset:1288 ; 4-byte Folded Spill
	v_fma_f64 v[56:57], v[204:205], s[4:5], v[56:57]
	v_add_f64 v[228:229], v[56:57], v[64:65]
	v_fma_f64 v[56:57], v[208:209], s[4:5], -v[62:63]
	v_fma_f64 v[62:63], v[204:205], s[22:23], v[254:255]
	v_add_f64 v[230:231], v[56:57], v[66:67]
	v_mul_f64 v[56:57], v[198:199], s[38:39]
	buffer_store_dword v56, off, s[60:63], 0 offset:1292 ; 4-byte Folded Spill
	s_nop 0
	buffer_store_dword v57, off, s[60:63], 0 offset:1296 ; 4-byte Folded Spill
	v_add_f64 v[236:237], v[62:63], v[101:102]
	v_mul_f64 v[66:67], v[188:189], s[34:35]
	v_mul_f64 v[101:102], v[214:215], s[42:43]
	v_fma_f64 v[56:57], v[204:205], s[12:13], v[56:57]
	v_add_f64 v[232:233], v[56:57], v[68:69]
	v_fma_f64 v[56:57], v[208:209], s[12:13], -v[248:249]
	v_mul_f64 v[68:69], v[198:199], s[42:43]
	v_add_f64 v[234:235], v[56:57], v[70:71]
	v_mul_f64 v[56:57], v[188:189], s[56:57]
	v_mul_f64 v[70:71], v[188:189], s[42:43]
	v_fma_f64 v[62:63], v[208:209], s[22:23], -v[56:57]
	v_add_f64 v[148:149], v[62:63], v[148:149]
	v_mul_f64 v[62:63], v[198:199], s[34:35]
	v_fma_f64 v[64:65], v[204:205], s[0:1], v[62:63]
	v_add_f64 v[196:197], v[64:65], v[80:81]
	v_fma_f64 v[64:65], v[208:209], s[0:1], -v[66:67]
	v_mul_f64 v[80:81], v[198:199], s[48:49]
	v_add_f64 v[192:193], v[64:65], v[82:83]
	v_fma_f64 v[64:65], v[204:205], s[24:25], v[68:69]
	v_add_f64 v[216:217], v[64:65], v[84:85]
	v_fma_f64 v[64:65], v[208:209], s[24:25], -v[70:71]
	v_add_f64 v[212:213], v[64:65], v[86:87]
	v_mul_f64 v[86:87], v[188:189], s[48:49]
	v_fma_f64 v[64:65], v[204:205], s[16:17], v[80:81]
	v_add_f64 v[210:211], v[64:65], v[88:89]
	v_fma_f64 v[64:65], v[208:209], s[16:17], -v[86:87]
	v_add_f64 v[206:207], v[64:65], v[90:91]
	v_mul_f64 v[64:65], v[198:199], s[26:27]
	v_fma_f64 v[82:83], v[204:205], s[18:19], -v[64:65]
	v_fma_f64 v[64:65], v[204:205], s[18:19], v[64:65]
	v_add_f64 v[200:201], v[82:83], v[92:93]
	v_mul_f64 v[82:83], v[188:189], s[26:27]
	v_add_f64 v[188:189], v[64:65], v[96:97]
	v_mul_f64 v[96:97], v[214:215], s[48:49]
	v_fma_f64 v[84:85], v[208:209], s[18:19], v[82:83]
	v_fma_f64 v[64:65], v[208:209], s[18:19], -v[82:83]
	v_add_f64 v[198:199], v[84:85], v[94:95]
	v_add_f64 v[94:95], v[64:65], v[52:53]
	v_fma_f64 v[52:53], v[240:241], s[24:25], v[101:102]
	v_mul_f64 v[64:65], v[202:203], s[46:47]
	v_add_f64 v[82:83], v[52:53], v[220:221]
	v_fma_f64 v[52:53], v[242:243], s[24:25], -v[244:245]
	v_add_f64 v[84:85], v[52:53], v[226:227]
	v_mul_f64 v[52:53], v[214:215], s[46:47]
	buffer_store_dword v82, off, s[60:63], 0 ; 4-byte Folded Spill
	s_nop 0
	buffer_store_dword v83, off, s[60:63], 0 offset:4 ; 4-byte Folded Spill
	buffer_store_dword v84, off, s[60:63], 0 offset:8 ; 4-byte Folded Spill
	;; [unrolled: 1-line block ×3, first 2 shown]
	v_fma_f64 v[82:83], v[240:241], s[0:1], v[52:53]
	v_mul_f64 v[84:85], v[202:203], s[30:31]
	v_add_f64 v[88:89], v[82:83], v[228:229]
	v_fma_f64 v[82:83], v[242:243], s[0:1], -v[64:65]
	v_add_f64 v[90:91], v[82:83], v[230:231]
	v_mul_f64 v[82:83], v[214:215], s[30:31]
	buffer_store_dword v88, off, s[60:63], 0 offset:16 ; 4-byte Folded Spill
	s_nop 0
	buffer_store_dword v89, off, s[60:63], 0 offset:20 ; 4-byte Folded Spill
	buffer_store_dword v90, off, s[60:63], 0 offset:24 ; 4-byte Folded Spill
	;; [unrolled: 1-line block ×3, first 2 shown]
	v_fma_f64 v[88:89], v[240:241], s[20:21], v[82:83]
	v_add_f64 v[90:91], v[88:89], v[232:233]
	v_fma_f64 v[88:89], v[242:243], s[20:21], -v[84:85]
	v_add_f64 v[92:93], v[88:89], v[234:235]
	buffer_store_dword v90, off, s[60:63], 0 offset:32 ; 4-byte Folded Spill
	s_nop 0
	buffer_store_dword v91, off, s[60:63], 0 offset:36 ; 4-byte Folded Spill
	buffer_store_dword v92, off, s[60:63], 0 offset:40 ; 4-byte Folded Spill
	;; [unrolled: 1-line block ×3, first 2 shown]
	v_mul_f64 v[88:89], v[202:203], s[48:49]
	v_fma_f64 v[90:91], v[240:241], s[16:17], v[96:97]
	v_mul_f64 v[92:93], v[202:203], s[28:29]
	v_add_f64 v[226:227], v[90:91], v[236:237]
	v_fma_f64 v[90:91], v[242:243], s[16:17], -v[88:89]
	v_add_f64 v[228:229], v[90:91], v[148:149]
	v_mul_f64 v[90:91], v[214:215], s[28:29]
	buffer_store_dword v226, off, s[60:63], 0 offset:48 ; 4-byte Folded Spill
	s_nop 0
	buffer_store_dword v227, off, s[60:63], 0 offset:52 ; 4-byte Folded Spill
	buffer_store_dword v228, off, s[60:63], 0 offset:56 ; 4-byte Folded Spill
	;; [unrolled: 1-line block ×3, first 2 shown]
	v_fma_f64 v[148:149], v[240:241], s[22:23], v[90:91]
	v_add_f64 v[226:227], v[148:149], v[196:197]
	v_fma_f64 v[148:149], v[242:243], s[22:23], -v[92:93]
	v_mul_f64 v[196:197], v[202:203], s[36:37]
	v_add_f64 v[228:229], v[148:149], v[192:193]
	v_mul_f64 v[192:193], v[214:215], s[36:37]
	buffer_store_dword v226, off, s[60:63], 0 offset:64 ; 4-byte Folded Spill
	s_nop 0
	buffer_store_dword v227, off, s[60:63], 0 offset:68 ; 4-byte Folded Spill
	buffer_store_dword v228, off, s[60:63], 0 offset:72 ; 4-byte Folded Spill
	;; [unrolled: 1-line block ×3, first 2 shown]
	v_fma_f64 v[148:149], v[240:241], s[4:5], v[192:193]
	v_add_f64 v[226:227], v[148:149], v[216:217]
	v_fma_f64 v[148:149], v[242:243], s[4:5], -v[196:197]
	v_mul_f64 v[216:217], v[202:203], s[26:27]
	v_add_f64 v[228:229], v[148:149], v[212:213]
	v_mul_f64 v[212:213], v[214:215], s[26:27]
	buffer_store_dword v226, off, s[60:63], 0 offset:80 ; 4-byte Folded Spill
	s_nop 0
	buffer_store_dword v227, off, s[60:63], 0 offset:84 ; 4-byte Folded Spill
	buffer_store_dword v228, off, s[60:63], 0 offset:88 ; 4-byte Folded Spill
	;; [unrolled: 1-line block ×3, first 2 shown]
	v_fma_f64 v[148:149], v[240:241], s[18:19], v[212:213]
	v_add_f64 v[226:227], v[148:149], v[210:211]
	v_fma_f64 v[148:149], v[242:243], s[18:19], -v[216:217]
	v_add_f64 v[228:229], v[148:149], v[206:207]
	v_mul_f64 v[148:149], v[214:215], s[50:51]
	buffer_store_dword v226, off, s[60:63], 0 offset:96 ; 4-byte Folded Spill
	s_nop 0
	buffer_store_dword v227, off, s[60:63], 0 offset:100 ; 4-byte Folded Spill
	buffer_store_dword v228, off, s[60:63], 0 offset:104 ; 4-byte Folded Spill
	;; [unrolled: 1-line block ×3, first 2 shown]
	v_fma_f64 v[206:207], v[240:241], s[12:13], -v[148:149]
	v_fma_f64 v[148:149], v[240:241], s[12:13], v[148:149]
	s_waitcnt lgkmcnt(0)
	; wave barrier
	s_waitcnt vmcnt(63) expcnt(7) lgkmcnt(15)
	v_add_f64 v[226:227], v[206:207], v[200:201]
	v_mul_f64 v[200:201], v[202:203], s[50:51]
	v_add_f64 v[230:231], v[148:149], v[188:189]
	buffer_load_dword v188, off, s[60:63], 0 offset:672 ; 4-byte Folded Reload
	v_fma_f64 v[202:203], v[242:243], s[12:13], v[200:201]
	v_fma_f64 v[148:149], v[242:243], s[12:13], -v[200:201]
	v_add_f64 v[228:229], v[202:203], v[198:199]
	buffer_load_dword v199, off, s[60:63], 0 offset:400 ; 4-byte Folded Reload
	buffer_load_dword v200, off, s[60:63], 0 offset:404 ; 4-byte Folded Reload
	;; [unrolled: 1-line block ×4, first 2 shown]
	v_add_f64 v[232:233], v[148:149], v[94:95]
	v_mov_b32_e32 v198, v238
	v_mul_lo_u16_e32 v94, 17, v198
	s_waitcnt vmcnt(4)
	v_lshl_add_u32 v148, v94, 4, v188
	s_waitcnt vmcnt(0)
	ds_write_b128 v148, v[199:202]
	ds_write_b128 v148, v[28:31] offset:16
	ds_write_b128 v148, v[36:39] offset:32
	;; [unrolled: 1-line block ×11, first 2 shown]
	v_mov_b32_e32 v167, v239
	v_mul_u32_u24_e32 v178, 17, v167
	ds_write_b128 v148, v[156:159] offset:192
	ds_write_b128 v148, v[48:51] offset:208
	;; [unrolled: 1-line block ×5, first 2 shown]
	s_and_saveexec_b64 s[26:27], vcc
	s_cbranch_execz .LBB0_7
; %bb.6:
	buffer_load_dword v36, off, s[60:63], 0 offset:1308 ; 4-byte Folded Reload
	buffer_load_dword v37, off, s[60:63], 0 offset:1312 ; 4-byte Folded Reload
	buffer_load_dword v38, off, s[60:63], 0 offset:1196 ; 4-byte Folded Reload
	buffer_load_dword v39, off, s[60:63], 0 offset:1200 ; 4-byte Folded Reload
	buffer_load_dword v40, off, s[60:63], 0 offset:1076 ; 4-byte Folded Reload
	buffer_load_dword v41, off, s[60:63], 0 offset:1080 ; 4-byte Folded Reload
	buffer_load_dword v42, off, s[60:63], 0 offset:956 ; 4-byte Folded Reload
	buffer_load_dword v43, off, s[60:63], 0 offset:960 ; 4-byte Folded Reload
	buffer_load_dword v44, off, s[60:63], 0 offset:772 ; 4-byte Folded Reload
	buffer_load_dword v45, off, s[60:63], 0 offset:776 ; 4-byte Folded Reload
	buffer_load_dword v46, off, s[60:63], 0 offset:1060 ; 4-byte Folded Reload
	buffer_load_dword v47, off, s[60:63], 0 offset:1064 ; 4-byte Folded Reload
	v_mul_f64 v[34:35], v[252:253], s[0:1]
	v_add_f64 v[26:27], v[0:1], v[128:129]
	v_add_f64 v[24:25], v[2:3], v[130:131]
	v_mul_f64 v[30:31], v[78:79], s[24:25]
	v_mul_f64 v[94:95], v[74:75], s[16:17]
	;; [unrolled: 1-line block ×6, first 2 shown]
	v_add_f64 v[26:27], v[26:27], v[132:133]
	v_add_f64 v[24:25], v[24:25], v[134:135]
	;; [unrolled: 1-line block ×3, first 2 shown]
	v_mul_f64 v[132:133], v[190:191], s[24:25]
	v_mul_f64 v[165:166], v[240:241], s[20:21]
	v_add_f64 v[26:27], v[26:27], v[136:137]
	v_add_f64 v[24:25], v[24:25], v[138:139]
	v_mul_f64 v[138:139], v[222:223], s[24:25]
	v_add_f64 v[26:27], v[26:27], v[140:141]
	v_add_f64 v[24:25], v[24:25], v[142:143]
	v_mul_f64 v[140:141], v[224:225], s[24:25]
	v_add_f64 v[32:33], v[26:27], v[144:145]
	v_mul_f64 v[26:27], v[208:209], s[16:17]
	;; [unrolled: 2-line block ×3, first 2 shown]
	v_mul_f64 v[146:147], v[250:251], s[20:21]
	v_add_f64 v[12:13], v[32:33], v[12:13]
	v_add_f64 v[26:27], v[86:87], v[26:27]
	v_mul_f64 v[86:87], v[78:79], s[0:1]
	v_add_f64 v[24:25], v[216:217], v[24:25]
	v_add_f64 v[14:15], v[28:29], v[14:15]
	;; [unrolled: 1-line block ×10, first 2 shown]
	s_waitcnt vmcnt(10)
	v_add_f64 v[34:35], v[36:37], v[34:35]
	v_mul_f64 v[36:37], v[224:225], s[22:23]
	v_add_f64 v[6:7], v[6:7], v[22:23]
	v_add_f64 v[4:5], v[4:5], v[104:105]
	s_waitcnt vmcnt(8)
	v_add_f64 v[36:37], v[38:39], v[36:37]
	v_mul_f64 v[38:39], v[194:195], s[12:13]
	v_add_f64 v[6:7], v[6:7], v[106:107]
	v_add_f64 v[4:5], v[4:5], v[108:109]
	;; [unrolled: 5-line block ×5, first 2 shown]
	v_add_f64 v[42:43], v[2:3], v[42:43]
	s_waitcnt vmcnt(0)
	v_add_f64 v[44:45], v[44:45], -v[46:47]
	buffer_load_dword v46, off, s[60:63], 0 offset:756 ; 4-byte Folded Reload
	buffer_load_dword v47, off, s[60:63], 0 offset:760 ; 4-byte Folded Reload
	v_add_f64 v[40:41], v[40:41], v[42:43]
	v_mul_f64 v[42:43], v[58:59], s[20:21]
	v_add_f64 v[38:39], v[38:39], v[40:41]
	v_mul_f64 v[40:41], v[72:73], s[4:5]
	;; [unrolled: 2-line block ×3, first 2 shown]
	v_add_f64 v[34:35], v[34:35], v[36:37]
	v_add_f64 v[30:31], v[30:31], v[34:35]
	;; [unrolled: 1-line block ×4, first 2 shown]
	s_waitcnt vmcnt(0)
	v_add_f64 v[42:43], v[42:43], -v[46:47]
	buffer_load_dword v46, off, s[60:63], 0 offset:940 ; 4-byte Folded Reload
	buffer_load_dword v47, off, s[60:63], 0 offset:944 ; 4-byte Folded Reload
	v_add_f64 v[42:43], v[0:1], v[42:43]
	s_waitcnt vmcnt(0)
	v_add_f64 v[40:41], v[40:41], -v[46:47]
	buffer_load_dword v46, off, s[60:63], 0 offset:1180 ; 4-byte Folded Reload
	buffer_load_dword v47, off, s[60:63], 0 offset:1184 ; 4-byte Folded Reload
	v_add_f64 v[40:41], v[40:41], v[42:43]
	v_mul_f64 v[42:43], v[222:223], s[22:23]
	v_add_f64 v[40:41], v[44:45], v[40:41]
	buffer_load_dword v44, off, s[60:63], 0 offset:1300 ; 4-byte Folded Reload
	buffer_load_dword v45, off, s[60:63], 0 offset:1304 ; 4-byte Folded Reload
	s_waitcnt vmcnt(2)
	v_add_f64 v[42:43], v[42:43], -v[46:47]
	v_add_f64 v[40:41], v[42:43], v[40:41]
	v_mul_f64 v[42:43], v[76:77], s[24:25]
	s_waitcnt vmcnt(0)
	v_add_f64 v[38:39], v[38:39], -v[44:45]
	v_add_f64 v[42:43], v[42:43], -v[150:151]
	v_mul_f64 v[149:150], v[252:253], s[20:21]
	v_add_f64 v[36:37], v[38:39], v[40:41]
	v_mul_f64 v[38:39], v[204:205], s[16:17]
	v_add_f64 v[34:35], v[42:43], v[36:37]
	v_add_f64 v[38:39], v[38:39], -v[80:81]
	v_mul_f64 v[36:37], v[240:241], s[18:19]
	v_add_f64 v[30:31], v[38:39], v[34:35]
	v_add_f64 v[36:37], v[36:37], -v[212:213]
	buffer_load_dword v34, off, s[60:63], 0 offset:1044 ; 4-byte Folded Reload
	buffer_load_dword v35, off, s[60:63], 0 offset:1048 ; 4-byte Folded Reload
	v_add_f64 v[24:25], v[36:37], v[30:31]
	buffer_load_dword v36, off, s[60:63], 0 offset:724 ; 4-byte Folded Reload
	buffer_load_dword v37, off, s[60:63], 0 offset:728 ; 4-byte Folded Reload
	;; [unrolled: 1-line block ×4, first 2 shown]
	v_mul_f64 v[30:31], v[194:195], s[0:1]
	s_waitcnt vmcnt(4)
	v_add_f64 v[30:31], v[34:35], v[30:31]
	v_mul_f64 v[34:35], v[60:61], s[22:23]
	s_waitcnt vmcnt(2)
	v_add_f64 v[34:35], v[36:37], v[34:35]
	v_mul_f64 v[36:37], v[74:75], s[18:19]
	v_add_f64 v[34:35], v[2:3], v[34:35]
	s_waitcnt vmcnt(0)
	v_add_f64 v[36:37], v[38:39], v[36:37]
	buffer_load_dword v38, off, s[60:63], 0 offset:1156 ; 4-byte Folded Reload
	buffer_load_dword v39, off, s[60:63], 0 offset:1160 ; 4-byte Folded Reload
	v_add_f64 v[34:35], v[36:37], v[34:35]
	v_mul_f64 v[36:37], v[224:225], s[20:21]
	v_add_f64 v[30:31], v[30:31], v[34:35]
	v_mul_f64 v[34:35], v[252:253], s[12:13]
	s_waitcnt vmcnt(0)
	v_add_f64 v[36:37], v[38:39], v[36:37]
	buffer_load_dword v38, off, s[60:63], 0 offset:1268 ; 4-byte Folded Reload
	buffer_load_dword v39, off, s[60:63], 0 offset:1272 ; 4-byte Folded Reload
	v_add_f64 v[30:31], v[36:37], v[30:31]
	v_mul_f64 v[36:37], v[78:79], s[16:17]
	v_add_f64 v[36:37], v[218:219], v[36:37]
	s_waitcnt vmcnt(0)
	v_add_f64 v[34:35], v[38:39], v[34:35]
	buffer_load_dword v38, off, s[60:63], 0 offset:1028 ; 4-byte Folded Reload
	buffer_load_dword v39, off, s[60:63], 0 offset:1032 ; 4-byte Folded Reload
	;; [unrolled: 1-line block ×6, first 2 shown]
	v_add_f64 v[30:31], v[34:35], v[30:31]
	v_mul_f64 v[34:35], v[208:209], s[24:25]
	v_add_f64 v[30:31], v[36:37], v[30:31]
	v_add_f64 v[34:35], v[70:71], v[34:35]
	v_mul_f64 v[36:37], v[242:243], s[4:5]
	v_add_f64 v[30:31], v[34:35], v[30:31]
	v_mul_f64 v[34:35], v[190:191], s[0:1]
	v_add_f64 v[36:37], v[196:197], v[36:37]
	v_add_f64 v[30:31], v[36:37], v[30:31]
	s_waitcnt vmcnt(4)
	v_add_f64 v[34:35], v[34:35], -v[38:39]
	v_mul_f64 v[38:39], v[58:59], s[22:23]
	s_waitcnt vmcnt(2)
	v_add_f64 v[38:39], v[38:39], -v[40:41]
	v_mul_f64 v[40:41], v[72:73], s[18:19]
	v_add_f64 v[38:39], v[0:1], v[38:39]
	s_waitcnt vmcnt(0)
	v_add_f64 v[40:41], v[40:41], -v[42:43]
	buffer_load_dword v42, off, s[60:63], 0 offset:1132 ; 4-byte Folded Reload
	buffer_load_dword v43, off, s[60:63], 0 offset:1136 ; 4-byte Folded Reload
	v_add_f64 v[38:39], v[40:41], v[38:39]
	v_mul_f64 v[40:41], v[222:223], s[20:21]
	v_add_f64 v[34:35], v[34:35], v[38:39]
	v_mul_f64 v[38:39], v[250:251], s[12:13]
	s_waitcnt vmcnt(0)
	v_add_f64 v[40:41], v[40:41], -v[42:43]
	buffer_load_dword v42, off, s[60:63], 0 offset:1260 ; 4-byte Folded Reload
	buffer_load_dword v43, off, s[60:63], 0 offset:1264 ; 4-byte Folded Reload
	v_add_f64 v[34:35], v[40:41], v[34:35]
	v_mul_f64 v[40:41], v[76:77], s[16:17]
	v_add_f64 v[40:41], v[40:41], -v[246:247]
	s_waitcnt vmcnt(0)
	v_add_f64 v[38:39], v[38:39], -v[42:43]
	v_add_f64 v[34:35], v[38:39], v[34:35]
	v_mul_f64 v[38:39], v[204:205], s[24:25]
	v_add_f64 v[34:35], v[40:41], v[34:35]
	v_add_f64 v[38:39], v[38:39], -v[68:69]
	v_mul_f64 v[40:41], v[240:241], s[4:5]
	v_add_f64 v[42:43], v[38:39], v[34:35]
	buffer_load_dword v38, off, s[60:63], 0 offset:996 ; 4-byte Folded Reload
	buffer_load_dword v39, off, s[60:63], 0 offset:1000 ; 4-byte Folded Reload
	;; [unrolled: 1-line block ×6, first 2 shown]
	v_mul_f64 v[34:35], v[194:195], s[16:17]
	v_add_f64 v[40:41], v[40:41], -v[192:193]
	s_waitcnt vmcnt(4)
	v_add_f64 v[34:35], v[38:39], v[34:35]
	v_mul_f64 v[38:39], v[60:61], s[18:19]
	s_waitcnt vmcnt(2)
	v_add_f64 v[38:39], v[44:45], v[38:39]
	v_mul_f64 v[44:45], v[74:75], s[20:21]
	v_add_f64 v[38:39], v[2:3], v[38:39]
	s_waitcnt vmcnt(0)
	v_add_f64 v[44:45], v[46:47], v[44:45]
	buffer_load_dword v46, off, s[60:63], 0 offset:1108 ; 4-byte Folded Reload
	buffer_load_dword v47, off, s[60:63], 0 offset:1112 ; 4-byte Folded Reload
	v_add_f64 v[38:39], v[44:45], v[38:39]
	v_mul_f64 v[44:45], v[224:225], s[4:5]
	v_add_f64 v[34:35], v[34:35], v[38:39]
	v_mul_f64 v[38:39], v[252:253], s[24:25]
	s_waitcnt vmcnt(0)
	v_add_f64 v[44:45], v[46:47], v[44:45]
	buffer_load_dword v46, off, s[60:63], 0 offset:1228 ; 4-byte Folded Reload
	buffer_load_dword v47, off, s[60:63], 0 offset:1232 ; 4-byte Folded Reload
	v_add_f64 v[34:35], v[44:45], v[34:35]
	v_mul_f64 v[44:45], v[78:79], s[12:13]
	v_add_f64 v[44:45], v[99:100], v[44:45]
	s_waitcnt vmcnt(0)
	v_add_f64 v[38:39], v[46:47], v[38:39]
	buffer_load_dword v46, off, s[60:63], 0 offset:988 ; 4-byte Folded Reload
	buffer_load_dword v47, off, s[60:63], 0 offset:992 ; 4-byte Folded Reload
	;; [unrolled: 1-line block ×6, first 2 shown]
	v_add_f64 v[34:35], v[38:39], v[34:35]
	v_mul_f64 v[38:39], v[208:209], s[0:1]
	v_add_f64 v[34:35], v[44:45], v[34:35]
	v_add_f64 v[38:39], v[66:67], v[38:39]
	v_mul_f64 v[44:45], v[242:243], s[22:23]
	v_add_f64 v[34:35], v[38:39], v[34:35]
	v_mul_f64 v[38:39], v[190:191], s[16:17]
	;; [unrolled: 2-line block ×3, first 2 shown]
	v_add_f64 v[34:35], v[44:45], v[34:35]
	s_waitcnt vmcnt(4)
	v_add_f64 v[38:39], v[38:39], -v[46:47]
	v_mul_f64 v[46:47], v[58:59], s[18:19]
	s_waitcnt vmcnt(2)
	v_add_f64 v[46:47], v[46:47], -v[48:49]
	v_mul_f64 v[48:49], v[72:73], s[20:21]
	v_add_f64 v[46:47], v[0:1], v[46:47]
	s_waitcnt vmcnt(0)
	v_add_f64 v[48:49], v[48:49], -v[50:51]
	buffer_load_dword v50, off, s[60:63], 0 offset:1100 ; 4-byte Folded Reload
	buffer_load_dword v51, off, s[60:63], 0 offset:1104 ; 4-byte Folded Reload
	v_add_f64 v[46:47], v[48:49], v[46:47]
	v_mul_f64 v[48:49], v[222:223], s[4:5]
	v_add_f64 v[38:39], v[38:39], v[46:47]
	v_mul_f64 v[46:47], v[250:251], s[24:25]
	s_waitcnt vmcnt(0)
	v_add_f64 v[48:49], v[48:49], -v[50:51]
	buffer_load_dword v50, off, s[60:63], 0 offset:1220 ; 4-byte Folded Reload
	buffer_load_dword v51, off, s[60:63], 0 offset:1224 ; 4-byte Folded Reload
	v_add_f64 v[38:39], v[48:49], v[38:39]
	v_mul_f64 v[48:49], v[76:77], s[12:13]
	s_waitcnt vmcnt(0)
	v_add_f64 v[46:47], v[46:47], -v[50:51]
	buffer_load_dword v50, off, s[60:63], 0 offset:1332 ; 4-byte Folded Reload
	buffer_load_dword v51, off, s[60:63], 0 offset:1336 ; 4-byte Folded Reload
	v_add_f64 v[38:39], v[46:47], v[38:39]
	v_mul_f64 v[46:47], v[204:205], s[0:1]
	v_add_f64 v[46:47], v[46:47], -v[62:63]
	s_waitcnt vmcnt(0)
	v_add_f64 v[48:49], v[48:49], -v[50:51]
	buffer_load_dword v50, off, s[60:63], 0 offset:972 ; 4-byte Folded Reload
	buffer_load_dword v51, off, s[60:63], 0 offset:976 ; 4-byte Folded Reload
	buffer_load_dword v54, off, s[60:63], 0 offset:576 ; 4-byte Folded Reload
	buffer_load_dword v55, off, s[60:63], 0 offset:580 ; 4-byte Folded Reload
	buffer_load_dword v62, off, s[60:63], 0 offset:804 ; 4-byte Folded Reload
	buffer_load_dword v63, off, s[60:63], 0 offset:808 ; 4-byte Folded Reload
	v_add_f64 v[38:39], v[48:49], v[38:39]
	v_mul_f64 v[48:49], v[240:241], s[22:23]
	v_add_f64 v[46:47], v[46:47], v[38:39]
	v_mul_f64 v[38:39], v[194:195], s[18:19]
	v_add_f64 v[48:49], v[48:49], -v[90:91]
	s_waitcnt vmcnt(4)
	v_add_f64 v[38:39], v[50:51], v[38:39]
	v_mul_f64 v[50:51], v[60:61], s[12:13]
	s_waitcnt vmcnt(2)
	v_add_f64 v[50:51], v[54:55], v[50:51]
	v_mul_f64 v[54:55], v[74:75], s[24:25]
	v_add_f64 v[50:51], v[2:3], v[50:51]
	s_waitcnt vmcnt(0)
	v_add_f64 v[54:55], v[62:63], v[54:55]
	buffer_load_dword v62, off, s[60:63], 0 offset:1092 ; 4-byte Folded Reload
	buffer_load_dword v63, off, s[60:63], 0 offset:1096 ; 4-byte Folded Reload
	v_add_f64 v[50:51], v[54:55], v[50:51]
	v_mul_f64 v[54:55], v[224:225], s[0:1]
	v_add_f64 v[38:39], v[38:39], v[50:51]
	v_mul_f64 v[50:51], v[252:253], s[4:5]
	s_waitcnt vmcnt(0)
	v_add_f64 v[54:55], v[62:63], v[54:55]
	buffer_load_dword v62, off, s[60:63], 0 offset:1212 ; 4-byte Folded Reload
	buffer_load_dword v63, off, s[60:63], 0 offset:1216 ; 4-byte Folded Reload
	v_add_f64 v[38:39], v[54:55], v[38:39]
	v_mul_f64 v[54:55], v[78:79], s[20:21]
	s_waitcnt vmcnt(0)
	v_add_f64 v[50:51], v[62:63], v[50:51]
	buffer_load_dword v62, off, s[60:63], 0 offset:1324 ; 4-byte Folded Reload
	buffer_load_dword v63, off, s[60:63], 0 offset:1328 ; 4-byte Folded Reload
	v_add_f64 v[38:39], v[50:51], v[38:39]
	v_mul_f64 v[50:51], v[208:209], s[22:23]
	v_add_f64 v[50:51], v[56:57], v[50:51]
	buffer_load_dword v56, off, s[60:63], 0 offset:1316 ; 4-byte Folded Reload
	buffer_load_dword v57, off, s[60:63], 0 offset:1320 ; 4-byte Folded Reload
	s_waitcnt vmcnt(2)
	v_add_f64 v[54:55], v[62:63], v[54:55]
	buffer_load_dword v62, off, s[60:63], 0 offset:964 ; 4-byte Folded Reload
	buffer_load_dword v63, off, s[60:63], 0 offset:968 ; 4-byte Folded Reload
	;; [unrolled: 1-line block ×6, first 2 shown]
	v_add_f64 v[38:39], v[54:55], v[38:39]
	v_mul_f64 v[54:55], v[242:243], s[16:17]
	v_add_f64 v[38:39], v[50:51], v[38:39]
	v_mul_f64 v[50:51], v[76:77], s[20:21]
	v_add_f64 v[54:55], v[88:89], v[54:55]
	s_waitcnt vmcnt(6)
	v_add_f64 v[50:51], v[50:51], -v[56:57]
	v_mul_f64 v[56:57], v[190:191], s[18:19]
	v_add_f64 v[38:39], v[54:55], v[38:39]
	s_waitcnt vmcnt(4)
	v_add_f64 v[56:57], v[56:57], -v[62:63]
	v_mul_f64 v[62:63], v[58:59], s[12:13]
	s_waitcnt vmcnt(2)
	v_add_f64 v[62:63], v[62:63], -v[66:67]
	v_mul_f64 v[66:67], v[72:73], s[24:25]
	v_add_f64 v[62:63], v[0:1], v[62:63]
	s_waitcnt vmcnt(0)
	v_add_f64 v[66:67], v[66:67], -v[68:69]
	buffer_load_dword v68, off, s[60:63], 0 offset:1068 ; 4-byte Folded Reload
	buffer_load_dword v69, off, s[60:63], 0 offset:1072 ; 4-byte Folded Reload
	v_add_f64 v[62:63], v[66:67], v[62:63]
	v_mul_f64 v[66:67], v[222:223], s[0:1]
	v_add_f64 v[56:57], v[56:57], v[62:63]
	v_mul_f64 v[62:63], v[250:251], s[4:5]
	s_waitcnt vmcnt(0)
	v_add_f64 v[66:67], v[66:67], -v[68:69]
	buffer_load_dword v68, off, s[60:63], 0 offset:1188 ; 4-byte Folded Reload
	buffer_load_dword v69, off, s[60:63], 0 offset:1192 ; 4-byte Folded Reload
	v_add_f64 v[56:57], v[66:67], v[56:57]
	v_mul_f64 v[66:67], v[194:195], s[24:25]
	s_waitcnt vmcnt(0)
	v_add_f64 v[62:63], v[62:63], -v[68:69]
	buffer_load_dword v68, off, s[60:63], 0 offset:948 ; 4-byte Folded Reload
	buffer_load_dword v69, off, s[60:63], 0 offset:952 ; 4-byte Folded Reload
	;; [unrolled: 1-line block ×6, first 2 shown]
	v_add_f64 v[56:57], v[62:63], v[56:57]
	v_mul_f64 v[62:63], v[58:59], s[0:1]
	v_add_f64 v[50:51], v[50:51], v[56:57]
	v_mul_f64 v[56:57], v[58:59], s[16:17]
	v_mul_f64 v[58:59], v[58:59], s[4:5]
	s_waitcnt vmcnt(4)
	v_add_f64 v[66:67], v[68:69], v[66:67]
	v_mul_f64 v[68:69], v[60:61], s[4:5]
	s_waitcnt vmcnt(2)
	v_add_f64 v[68:69], v[70:71], v[68:69]
	v_mul_f64 v[70:71], v[74:75], s[22:23]
	v_mul_f64 v[74:75], v[74:75], s[12:13]
	v_add_f64 v[68:69], v[2:3], v[68:69]
	s_waitcnt vmcnt(0)
	v_add_f64 v[70:71], v[80:81], v[70:71]
	buffer_load_dword v80, off, s[60:63], 0 offset:1052 ; 4-byte Folded Reload
	buffer_load_dword v81, off, s[60:63], 0 offset:1056 ; 4-byte Folded Reload
	;; [unrolled: 1-line block ×6, first 2 shown]
	v_add_f64 v[68:69], v[70:71], v[68:69]
	v_mul_f64 v[70:71], v[224:225], s[18:19]
	v_add_f64 v[66:67], v[66:67], v[68:69]
	v_mul_f64 v[68:69], v[252:253], s[16:17]
	s_waitcnt vmcnt(4)
	v_add_f64 v[70:71], v[80:81], v[70:71]
	s_waitcnt vmcnt(2)
	v_add_f64 v[68:69], v[88:89], v[68:69]
	;; [unrolled: 2-line block ×3, first 2 shown]
	v_mul_f64 v[80:81], v[204:205], s[22:23]
	v_mul_f64 v[88:89], v[60:61], s[0:1]
	;; [unrolled: 1-line block ×4, first 2 shown]
	v_add_f64 v[66:67], v[70:71], v[66:67]
	v_mul_f64 v[70:71], v[240:241], s[16:17]
	v_add_f64 v[80:81], v[80:81], -v[254:255]
	v_add_f64 v[90:91], v[248:249], v[90:91]
	v_add_f64 v[66:67], v[68:69], v[66:67]
	v_add_f64 v[70:71], v[70:71], -v[96:97]
	buffer_load_dword v96, off, s[60:63], 0 offset:1148 ; 4-byte Folded Reload
	buffer_load_dword v97, off, s[60:63], 0 offset:1152 ; 4-byte Folded Reload
	;; [unrolled: 1-line block ×24, first 2 shown]
	v_mul_f64 v[68:69], v[72:73], s[16:17]
	v_add_f64 v[66:67], v[86:87], v[66:67]
	v_mul_f64 v[86:87], v[72:73], s[12:13]
	v_mul_f64 v[72:73], v[72:73], s[22:23]
	v_add_f64 v[50:51], v[80:81], v[50:51]
	v_mul_f64 v[80:81], v[222:223], s[18:19]
	v_add_f64 v[54:55], v[90:91], v[66:67]
	s_waitcnt vmcnt(22)
	v_add_f64 v[92:93], v[92:93], -v[96:97]
	s_waitcnt vmcnt(20)
	v_add_f64 v[80:81], v[80:81], -v[99:100]
	;; [unrolled: 2-line block ×4, first 2 shown]
	s_waitcnt vmcnt(14)
	v_add_f64 v[60:61], v[136:137], v[60:61]
	s_waitcnt vmcnt(12)
	v_add_f64 v[132:133], v[132:133], -v[142:143]
	s_waitcnt vmcnt(10)
	v_add_f64 v[74:75], v[144:145], v[74:75]
	s_waitcnt vmcnt(8)
	v_add_f64 v[130:131], v[151:152], v[130:131]
	;; [unrolled: 2-line block ×3, first 2 shown]
	v_mul_f64 v[151:152], v[78:79], s[22:23]
	v_add_f64 v[58:59], v[0:1], v[58:59]
	v_mul_f64 v[78:79], v[78:79], s[18:19]
	v_add_f64 v[60:61], v[2:3], v[60:61]
	s_waitcnt vmcnt(4)
	v_add_f64 v[149:150], v[159:160], v[149:150]
	v_mul_f64 v[99:100], v[194:195], s[4:5]
	v_mul_f64 v[96:97], v[190:191], s[4:5]
	;; [unrolled: 1-line block ×4, first 2 shown]
	v_add_f64 v[58:59], v[72:73], v[58:59]
	v_mul_f64 v[72:73], v[76:77], s[22:23]
	v_add_f64 v[60:61], v[74:75], v[60:61]
	v_mul_f64 v[74:75], v[76:77], s[18:19]
	v_mul_f64 v[76:77], v[76:77], s[0:1]
	s_waitcnt vmcnt(2)
	v_add_f64 v[78:79], v[161:162], v[78:79]
	v_mul_f64 v[136:137], v[224:225], s[12:13]
	v_mul_f64 v[144:145], v[252:253], s[18:19]
	v_add_f64 v[58:59], v[132:133], v[58:59]
	v_mul_f64 v[142:143], v[250:251], s[18:19]
	v_add_f64 v[60:61], v[130:131], v[60:61]
	v_mul_f64 v[132:133], v[204:205], s[20:21]
	s_waitcnt vmcnt(0)
	v_add_f64 v[32:33], v[76:77], -v[32:33]
	v_mul_f64 v[153:154], v[208:209], s[20:21]
	v_mul_f64 v[130:131], v[204:205], s[4:5]
	;; [unrolled: 1-line block ×3, first 2 shown]
	v_add_f64 v[58:59], v[80:81], v[58:59]
	v_mul_f64 v[80:81], v[240:241], s[24:25]
	v_add_f64 v[60:61], v[140:141], v[60:61]
	v_mul_f64 v[140:141], v[240:241], s[0:1]
	v_mul_f64 v[161:162], v[242:243], s[0:1]
	v_add_f64 v[44:45], v[92:93], v[58:59]
	buffer_load_dword v58, off, s[60:63], 0 offset:1284 ; 4-byte Folded Reload
	buffer_load_dword v59, off, s[60:63], 0 offset:1288 ; 4-byte Folded Reload
	;; [unrolled: 1-line block ×4, first 2 shown]
	v_add_f64 v[36:37], v[149:150], v[60:61]
	v_add_f64 v[60:61], v[165:166], -v[82:83]
	v_add_f64 v[14:15], v[32:33], v[44:45]
	buffer_load_dword v44, off, s[60:63], 0 offset:432 ; 4-byte Folded Reload
	buffer_load_dword v45, off, s[60:63], 0 offset:436 ; 4-byte Folded Reload
	;; [unrolled: 1-line block ×6, first 2 shown]
	v_add_f64 v[36:37], v[78:79], v[36:37]
	v_add_f64 v[32:33], v[64:65], v[161:162]
	s_waitcnt vmcnt(8)
	v_add_f64 v[58:59], v[58:59], v[155:156]
	s_waitcnt vmcnt(6)
	v_add_f64 v[12:13], v[157:158], -v[12:13]
	s_waitcnt vmcnt(4)
	v_add_f64 v[44:45], v[44:45], v[88:89]
	v_add_f64 v[36:37], v[58:59], v[36:37]
	s_waitcnt vmcnt(2)
	v_add_f64 v[8:9], v[62:63], -v[8:9]
	s_waitcnt vmcnt(0)
	v_add_f64 v[10:11], v[56:57], -v[10:11]
	buffer_load_dword v56, off, s[60:63], 0 offset:528 ; 4-byte Folded Reload
	buffer_load_dword v57, off, s[60:63], 0 offset:532 ; 4-byte Folded Reload
	;; [unrolled: 1-line block ×4, first 2 shown]
	v_add_f64 v[2:3], v[2:3], v[44:45]
	buffer_load_dword v44, off, s[60:63], 0 offset:496 ; 4-byte Folded Reload
	buffer_load_dword v45, off, s[60:63], 0 offset:500 ; 4-byte Folded Reload
	v_add_f64 v[8:9], v[0:1], v[8:9]
	v_add_f64 v[0:1], v[0:1], v[10:11]
	buffer_load_dword v10, off, s[60:63], 0 offset:708 ; 4-byte Folded Reload
	buffer_load_dword v11, off, s[60:63], 0 offset:712 ; 4-byte Folded Reload
	;; [unrolled: 1-line block ×10, first 2 shown]
	s_waitcnt vmcnt(14)
	v_add_f64 v[56:57], v[86:87], -v[56:57]
	s_waitcnt vmcnt(12)
	v_add_f64 v[58:59], v[58:59], v[94:95]
	s_waitcnt vmcnt(10)
	v_add_f64 v[44:45], v[68:69], -v[44:45]
	s_waitcnt vmcnt(8)
	v_add_f64 v[10:11], v[128:129], -v[10:11]
	s_waitcnt vmcnt(6)
	v_add_f64 v[16:17], v[16:17], v[99:100]
	v_add_f64 v[2:3], v[58:59], v[2:3]
	s_waitcnt vmcnt(4)
	v_add_f64 v[18:19], v[96:97], -v[18:19]
	v_add_f64 v[0:1], v[56:57], v[0:1]
	v_add_f64 v[8:9], v[44:45], v[8:9]
	s_waitcnt vmcnt(2)
	v_add_f64 v[20:21], v[138:139], -v[20:21]
	s_waitcnt vmcnt(0)
	v_add_f64 v[22:23], v[22:23], v[136:137]
	v_add_f64 v[44:45], v[80:81], -v[101:102]
	v_add_f64 v[2:3], v[16:17], v[2:3]
	buffer_load_dword v16, off, s[60:63], 0 offset:892 ; 4-byte Folded Reload
	buffer_load_dword v17, off, s[60:63], 0 offset:896 ; 4-byte Folded Reload
	v_add_f64 v[0:1], v[10:11], v[0:1]
	v_add_f64 v[8:9], v[18:19], v[8:9]
	buffer_load_dword v10, off, s[60:63], 0 offset:1036 ; 4-byte Folded Reload
	buffer_load_dword v11, off, s[60:63], 0 offset:1040 ; 4-byte Folded Reload
	;; [unrolled: 1-line block ×4, first 2 shown]
	v_add_f64 v[2:3], v[22:23], v[2:3]
	buffer_load_dword v22, off, s[60:63], 0 offset:1004 ; 4-byte Folded Reload
	buffer_load_dword v23, off, s[60:63], 0 offset:1008 ; 4-byte Folded Reload
	v_add_f64 v[0:1], v[20:21], v[0:1]
	s_waitcnt vmcnt(6)
	v_add_f64 v[16:17], v[134:135], -v[16:17]
	s_waitcnt vmcnt(4)
	v_add_f64 v[10:11], v[146:147], -v[10:11]
	s_waitcnt vmcnt(2)
	v_add_f64 v[18:19], v[18:19], v[144:145]
	v_add_f64 v[8:9], v[16:17], v[8:9]
	buffer_load_dword v16, off, s[60:63], 0 offset:1140 ; 4-byte Folded Reload
	buffer_load_dword v17, off, s[60:63], 0 offset:1144 ; 4-byte Folded Reload
	;; [unrolled: 1-line block ×4, first 2 shown]
	s_waitcnt vmcnt(4)
	v_add_f64 v[22:23], v[142:143], -v[22:23]
	v_add_f64 v[2:3], v[18:19], v[2:3]
	buffer_load_dword v18, off, s[60:63], 0 offset:1116 ; 4-byte Folded Reload
	buffer_load_dword v19, off, s[60:63], 0 offset:1120 ; 4-byte Folded Reload
	v_add_f64 v[0:1], v[10:11], v[0:1]
	buffer_load_dword v10, off, s[60:63], 0 offset:1252 ; 4-byte Folded Reload
	buffer_load_dword v11, off, s[60:63], 0 offset:1256 ; 4-byte Folded Reload
	;; [unrolled: 3-line block ×3, first 2 shown]
	s_waitcnt vmcnt(8)
	v_add_f64 v[16:17], v[74:75], -v[16:17]
	s_waitcnt vmcnt(6)
	v_add_f64 v[20:21], v[20:21], v[151:152]
	s_waitcnt vmcnt(4)
	v_add_f64 v[18:19], v[72:73], -v[18:19]
	s_waitcnt vmcnt(2)
	v_add_f64 v[10:11], v[130:131], -v[10:11]
	v_add_f64 v[0:1], v[16:17], v[0:1]
	v_add_f64 v[2:3], v[20:21], v[2:3]
	buffer_load_dword v20, off, s[60:63], 0 offset:1236 ; 4-byte Folded Reload
	buffer_load_dword v21, off, s[60:63], 0 offset:1240 ; 4-byte Folded Reload
	s_waitcnt vmcnt(2)
	v_add_f64 v[22:23], v[22:23], v[153:154]
	v_add_f64 v[8:9], v[18:19], v[8:9]
	v_add_f64 v[16:17], v[140:141], -v[52:53]
	v_add_f64 v[52:53], v[6:7], v[122:123]
	v_add_f64 v[18:19], v[244:245], v[159:160]
	;; [unrolled: 1-line block ×10, first 2 shown]
	s_waitcnt vmcnt(0)
	v_add_f64 v[20:21], v[132:133], -v[20:21]
	v_add_f64 v[8:9], v[20:21], v[8:9]
	v_add_f64 v[20:21], v[12:13], v[14:15]
	;; [unrolled: 1-line block ×5, first 2 shown]
	v_lshl_add_u32 v16, v178, 4, v188
	v_add_f64 v[8:9], v[44:45], v[8:9]
	v_add_f64 v[0:1], v[60:61], v[20:21]
	ds_write_b128 v16, v[12:15]
	ds_write_b128 v16, v[8:11] offset:16
	ds_write_b128 v16, v[4:7] offset:32
	;; [unrolled: 1-line block ×9, first 2 shown]
	buffer_load_dword v0, off, s[60:63], 0 offset:96 ; 4-byte Folded Reload
	buffer_load_dword v1, off, s[60:63], 0 offset:100 ; 4-byte Folded Reload
	buffer_load_dword v2, off, s[60:63], 0 offset:104 ; 4-byte Folded Reload
	buffer_load_dword v3, off, s[60:63], 0 offset:108 ; 4-byte Folded Reload
	s_waitcnt vmcnt(0)
	ds_write_b128 v16, v[0:3] offset:160
	buffer_load_dword v0, off, s[60:63], 0 offset:80 ; 4-byte Folded Reload
	buffer_load_dword v1, off, s[60:63], 0 offset:84 ; 4-byte Folded Reload
	buffer_load_dword v2, off, s[60:63], 0 offset:88 ; 4-byte Folded Reload
	buffer_load_dword v3, off, s[60:63], 0 offset:92 ; 4-byte Folded Reload
	s_waitcnt vmcnt(0)
	ds_write_b128 v16, v[0:3] offset:176
	;; [unrolled: 6-line block ×6, first 2 shown]
	buffer_load_dword v0, off, s[60:63], 0  ; 4-byte Folded Reload
	buffer_load_dword v1, off, s[60:63], 0 offset:4 ; 4-byte Folded Reload
	buffer_load_dword v2, off, s[60:63], 0 offset:8 ; 4-byte Folded Reload
	;; [unrolled: 1-line block ×3, first 2 shown]
	s_waitcnt vmcnt(0)
	ds_write_b128 v16, v[0:3] offset:256
.LBB0_7:
	s_or_b64 exec, exec, s[26:27]
	v_lshlrev_b32_e32 v140, 6, v198
	s_waitcnt lgkmcnt(0)
	; wave barrier
	s_waitcnt lgkmcnt(0)
	ds_read_b128 v[28:31], v103
	ds_read_b128 v[52:55], v103 offset:1360
	ds_read_b128 v[56:59], v103 offset:2720
	;; [unrolled: 1-line block ×24, first 2 shown]
	global_load_dwordx4 v[104:107], v140, s[2:3] offset:48
	global_load_dwordx4 v[108:111], v140, s[2:3] offset:32
	;; [unrolled: 1-line block ×3, first 2 shown]
	global_load_dwordx4 v[116:119], v140, s[2:3]
	v_add_co_u32_e64 v150, s[0:1], 34, v198
	v_add_co_u32_e64 v145, s[0:1], 51, v198
	s_movk_i32 s0, 0x44
	v_add_co_u32_e64 v144, s[0:1], s0, v198
	s_movk_i32 s0, 0xf1
	s_mov_b32 s18, 0x134454ff
	s_mov_b32 s19, 0x3fee6f0e
	;; [unrolled: 1-line block ×8, first 2 shown]
	s_add_u32 s4, s6, 0x1a90
	s_addc_u32 s5, s7, 0
	s_waitcnt vmcnt(0) lgkmcnt(14)
	v_mul_f64 v[96:97], v[54:55], v[118:119]
	v_fma_f64 v[132:133], v[52:53], v[116:117], -v[96:97]
	v_mul_f64 v[52:53], v[52:53], v[118:119]
	v_fma_f64 v[124:125], v[54:55], v[116:117], v[52:53]
	v_mul_f64 v[52:53], v[58:59], v[114:115]
	v_mul_f64 v[54:55], v[74:75], v[114:115]
	v_fma_f64 v[134:135], v[56:57], v[112:113], -v[52:53]
	v_mul_f64 v[52:53], v[56:57], v[114:115]
	v_fma_f64 v[96:97], v[72:73], v[112:113], -v[54:55]
	v_mul_f64 v[54:55], v[72:73], v[114:115]
	v_mul_f64 v[56:57], v[78:79], v[110:111]
	v_fma_f64 v[126:127], v[58:59], v[112:113], v[52:53]
	v_mul_f64 v[58:59], v[82:83], v[106:107]
	v_mul_f64 v[52:53], v[62:63], v[110:111]
	v_fma_f64 v[54:55], v[74:75], v[112:113], v[54:55]
	v_mul_lo_u16_sdwa v74, v145, s0 dst_sel:DWORD dst_unused:UNUSED_PAD src0_sel:BYTE_0 src1_sel:DWORD
	v_lshrrev_b16_e32 v74, 12, v74
	v_mul_lo_u16_e32 v74, 17, v74
	v_sub_u16_e32 v142, v145, v74
	v_lshlrev_b16_e32 v74, 2, v142
	v_fma_f64 v[122:123], v[80:81], v[104:105], -v[58:59]
	v_mul_f64 v[58:59], v[80:81], v[106:107]
	v_fma_f64 v[136:137], v[60:61], v[108:109], -v[52:53]
	v_mul_f64 v[52:53], v[60:61], v[110:111]
	v_and_b32_e32 v74, 0xfc, v74
	v_lshlrev_b32_e32 v74, 4, v74
	v_fma_f64 v[120:121], v[76:77], v[108:109], -v[56:57]
	v_mul_f64 v[56:57], v[76:77], v[110:111]
	v_fma_f64 v[60:61], v[82:83], v[104:105], v[58:59]
	v_mul_lo_u16_sdwa v58, v150, s0 dst_sel:DWORD dst_unused:UNUSED_PAD src0_sel:BYTE_0 src1_sel:DWORD
	v_lshrrev_b16_e32 v58, 12, v58
	v_mul_lo_u16_e32 v58, 17, v58
	v_sub_u16_e32 v141, v150, v58
	v_lshlrev_b16_e32 v58, 2, v141
	v_and_b32_e32 v58, 0xfc, v58
	v_lshlrev_b32_e32 v58, 4, v58
	global_load_dwordx4 v[179:182], v58, s[2:3] offset:48
	global_load_dwordx4 v[183:186], v58, s[2:3] offset:32
	;; [unrolled: 1-line block ×3, first 2 shown]
	global_load_dwordx4 v[193:196], v58, s[2:3]
	global_load_dwordx4 v[199:202], v74, s[2:3] offset:48
	global_load_dwordx4 v[203:206], v74, s[2:3] offset:32
	;; [unrolled: 1-line block ×3, first 2 shown]
	global_load_dwordx4 v[211:214], v74, s[2:3]
	v_fma_f64 v[56:57], v[78:79], v[108:109], v[56:57]
	v_fma_f64 v[128:129], v[62:63], v[108:109], v[52:53]
	v_mul_f64 v[52:53], v[66:67], v[106:107]
	v_fma_f64 v[138:139], v[64:65], v[104:105], -v[52:53]
	v_mul_f64 v[52:53], v[64:65], v[106:107]
	v_fma_f64 v[130:131], v[66:67], v[104:105], v[52:53]
	v_mul_f64 v[52:53], v[70:71], v[118:119]
	v_fma_f64 v[64:65], v[68:69], v[116:117], -v[52:53]
	v_mul_f64 v[52:53], v[68:69], v[118:119]
	v_fma_f64 v[52:53], v[70:71], v[116:117], v[52:53]
	s_waitcnt vmcnt(7) lgkmcnt(10)
	v_mul_f64 v[72:73], v[101:102], v[181:182]
	s_waitcnt vmcnt(6)
	v_mul_f64 v[70:71], v[94:95], v[185:186]
	s_waitcnt vmcnt(5)
	;; [unrolled: 2-line block ×3, first 2 shown]
	v_mul_f64 v[58:59], v[86:87], v[195:196]
	s_waitcnt vmcnt(0) lgkmcnt(8)
	v_mul_f64 v[74:75], v[50:51], v[213:214]
	v_mul_f64 v[62:63], v[84:85], v[195:196]
	v_fma_f64 v[80:81], v[99:100], v[179:180], -v[72:73]
	v_mul_f64 v[72:73], v[99:100], v[181:182]
	v_fma_f64 v[68:69], v[90:91], v[189:190], v[68:69]
	v_fma_f64 v[58:59], v[84:85], v[193:194], -v[58:59]
	v_fma_f64 v[74:75], v[48:49], v[211:212], -v[74:75]
	v_mul_f64 v[48:49], v[48:49], v[213:214]
	v_fma_f64 v[66:67], v[86:87], v[193:194], v[62:63]
	v_mul_f64 v[62:63], v[90:91], v[191:192]
	v_fma_f64 v[76:77], v[92:93], v[183:184], -v[70:71]
	v_fma_f64 v[72:73], v[101:102], v[179:180], v[72:73]
	v_mul_f64 v[70:71], v[92:93], v[185:186]
	v_fma_f64 v[82:83], v[50:51], v[211:212], v[48:49]
	s_waitcnt lgkmcnt(7)
	v_mul_f64 v[48:49], v[46:47], v[209:210]
	v_fma_f64 v[62:63], v[88:89], v[189:190], -v[62:63]
	v_add_f64 v[50:51], v[120:121], -v[122:123]
	v_fma_f64 v[70:71], v[94:95], v[183:184], v[70:71]
	v_fma_f64 v[78:79], v[44:45], v[207:208], -v[48:49]
	v_mul_f64 v[44:45], v[44:45], v[209:210]
	v_add_f64 v[48:49], v[122:123], -v[120:121]
	v_fma_f64 v[84:85], v[46:47], v[207:208], v[44:45]
	s_waitcnt lgkmcnt(6)
	v_mul_f64 v[44:45], v[42:43], v[205:206]
	v_add_f64 v[46:47], v[54:55], -v[56:57]
	v_fma_f64 v[101:102], v[40:41], v[203:204], -v[44:45]
	v_mul_f64 v[40:41], v[40:41], v[205:206]
	v_add_f64 v[44:45], v[64:65], -v[96:97]
	v_fma_f64 v[86:87], v[42:43], v[203:204], v[40:41]
	s_waitcnt lgkmcnt(5)
	v_mul_f64 v[40:41], v[38:39], v[201:202]
	v_add_f64 v[42:43], v[128:129], -v[130:131]
	v_add_f64 v[48:49], v[44:45], v[48:49]
	v_fma_f64 v[168:169], v[36:37], v[199:200], -v[40:41]
	v_mul_f64 v[36:37], v[36:37], v[201:202]
	v_add_f64 v[40:41], v[130:131], -v[128:129]
	v_fma_f64 v[88:89], v[38:39], v[199:200], v[36:37]
	v_mul_lo_u16_sdwa v36, v144, s0 dst_sel:DWORD dst_unused:UNUSED_PAD src0_sel:BYTE_0 src1_sel:DWORD
	v_lshrrev_b16_e32 v36, 12, v36
	v_mul_lo_u16_e32 v36, 17, v36
	v_sub_u16_e32 v143, v144, v36
	v_lshlrev_b16_e32 v36, 2, v143
	v_and_b32_e32 v36, 0xfc, v36
	v_lshlrev_b32_e32 v36, 4, v36
	global_load_dwordx4 v[215:218], v36, s[2:3] offset:48
	global_load_dwordx4 v[219:222], v36, s[2:3] offset:32
	;; [unrolled: 1-line block ×3, first 2 shown]
	global_load_dwordx4 v[238:241], v36, s[2:3]
	s_mov_b32 s0, 0x372fe950
	s_mov_b32 s1, 0x3fd3c6ef
	v_add_f64 v[38:39], v[134:135], -v[136:137]
	s_waitcnt lgkmcnt(0)
	; wave barrier
	s_waitcnt vmcnt(0) lgkmcnt(0)
	v_mul_f64 v[36:37], v[34:35], v[240:241]
	v_fma_f64 v[170:171], v[32:33], v[238:239], -v[36:37]
	v_mul_f64 v[32:33], v[32:33], v[240:241]
	v_add_f64 v[36:37], v[132:133], -v[138:139]
	v_fma_f64 v[90:91], v[34:35], v[238:239], v[32:33]
	v_mul_f64 v[32:33], v[26:27], v[236:237]
	v_add_f64 v[34:35], v[136:137], -v[138:139]
	v_fma_f64 v[172:173], v[24:25], v[234:235], -v[32:33]
	v_mul_f64 v[24:25], v[24:25], v[236:237]
	v_add_f64 v[32:33], v[138:139], -v[136:137]
	v_fma_f64 v[92:93], v[26:27], v[234:235], v[24:25]
	v_mul_f64 v[24:25], v[22:23], v[221:222]
	v_add_f64 v[26:27], v[126:127], -v[128:129]
	v_fma_f64 v[174:175], v[20:21], v[219:220], -v[24:25]
	v_mul_f64 v[20:21], v[20:21], v[221:222]
	v_add_f64 v[24:25], v[132:133], -v[134:135]
	v_fma_f64 v[94:95], v[22:23], v[219:220], v[20:21]
	v_mul_f64 v[20:21], v[18:19], v[217:218]
	v_add_f64 v[22:23], v[124:125], -v[130:131]
	v_add_f64 v[32:33], v[24:25], v[32:33]
	v_fma_f64 v[176:177], v[16:17], v[215:216], -v[20:21]
	v_mul_f64 v[16:17], v[16:17], v[217:218]
	v_fma_f64 v[99:100], v[18:19], v[215:216], v[16:17]
	v_add_f64 v[18:19], v[134:135], v[136:137]
	v_add_f64 v[16:17], v[28:29], v[132:133]
	v_fma_f64 v[18:19], v[18:19], -0.5, v[28:29]
	v_add_f64 v[16:17], v[16:17], v[134:135]
	v_fma_f64 v[20:21], v[22:23], s[18:19], v[18:19]
	v_fma_f64 v[18:19], v[22:23], s[16:17], v[18:19]
	v_add_f64 v[16:17], v[16:17], v[136:137]
	v_fma_f64 v[20:21], v[26:27], s[12:13], v[20:21]
	v_fma_f64 v[18:19], v[26:27], s[20:21], v[18:19]
	;; [unrolled: 3-line block ×3, first 2 shown]
	v_add_f64 v[18:19], v[132:133], v[138:139]
	v_add_f64 v[32:33], v[134:135], -v[132:133]
	v_fma_f64 v[18:19], v[18:19], -0.5, v[28:29]
	v_add_f64 v[34:35], v[32:33], v[34:35]
	v_fma_f64 v[28:29], v[26:27], s[16:17], v[18:19]
	v_fma_f64 v[18:19], v[26:27], s[18:19], v[18:19]
	;; [unrolled: 1-line block ×4, first 2 shown]
	v_add_f64 v[22:23], v[126:127], v[128:129]
	v_fma_f64 v[32:33], v[34:35], s[0:1], v[28:29]
	v_fma_f64 v[28:29], v[34:35], s[0:1], v[18:19]
	v_fma_f64 v[22:23], v[22:23], -0.5, v[30:31]
	v_add_f64 v[34:35], v[124:125], -v[126:127]
	v_add_f64 v[18:19], v[30:31], v[124:125]
	v_fma_f64 v[26:27], v[36:37], s[16:17], v[22:23]
	v_fma_f64 v[22:23], v[36:37], s[18:19], v[22:23]
	v_add_f64 v[34:35], v[34:35], v[40:41]
	v_add_f64 v[40:41], v[126:127], -v[124:125]
	v_add_f64 v[18:19], v[18:19], v[126:127]
	v_add_f64 v[126:127], v[90:91], -v[92:93]
	v_fma_f64 v[26:27], v[38:39], s[20:21], v[26:27]
	v_fma_f64 v[22:23], v[38:39], s[12:13], v[22:23]
	v_add_f64 v[40:41], v[40:41], v[42:43]
	v_add_f64 v[42:43], v[52:53], -v[60:61]
	v_add_f64 v[18:19], v[18:19], v[128:129]
	v_add_f64 v[128:129], v[172:173], -v[174:175]
	v_fma_f64 v[26:27], v[34:35], s[0:1], v[26:27]
	v_fma_f64 v[22:23], v[34:35], s[0:1], v[22:23]
	v_add_f64 v[34:35], v[124:125], v[130:131]
	v_add_f64 v[18:19], v[18:19], v[130:131]
	v_add_f64 v[130:131], v[99:100], -v[94:95]
	v_fma_f64 v[30:31], v[34:35], -0.5, v[30:31]
	v_add_f64 v[126:127], v[126:127], v[130:131]
	v_fma_f64 v[34:35], v[38:39], s[18:19], v[30:31]
	v_fma_f64 v[30:31], v[38:39], s[16:17], v[30:31]
	v_add_f64 v[38:39], v[96:97], v[120:121]
	v_fma_f64 v[34:35], v[36:37], s[20:21], v[34:35]
	v_fma_f64 v[30:31], v[36:37], s[12:13], v[30:31]
	v_fma_f64 v[38:39], v[38:39], -0.5, v[12:13]
	v_add_f64 v[36:37], v[12:13], v[64:65]
	v_fma_f64 v[34:35], v[40:41], s[0:1], v[34:35]
	v_fma_f64 v[30:31], v[40:41], s[0:1], v[30:31]
	;; [unrolled: 1-line block ×4, first 2 shown]
	v_add_f64 v[36:37], v[36:37], v[96:97]
	v_fma_f64 v[40:41], v[46:47], s[12:13], v[40:41]
	v_fma_f64 v[38:39], v[46:47], s[20:21], v[38:39]
	v_add_f64 v[36:37], v[36:37], v[120:121]
	v_fma_f64 v[44:45], v[48:49], s[0:1], v[40:41]
	v_fma_f64 v[40:41], v[48:49], s[0:1], v[38:39]
	v_add_f64 v[38:39], v[64:65], v[122:123]
	v_add_f64 v[48:49], v[96:97], -v[64:65]
	v_add_f64 v[64:65], v[64:65], -v[122:123]
	;; [unrolled: 1-line block ×4, first 2 shown]
	v_add_f64 v[36:37], v[36:37], v[122:123]
	v_add_f64 v[122:123], v[76:77], -v[80:81]
	v_fma_f64 v[12:13], v[38:39], -0.5, v[12:13]
	v_add_f64 v[50:51], v[48:49], v[50:51]
	v_fma_f64 v[38:39], v[46:47], s[16:17], v[12:13]
	v_fma_f64 v[12:13], v[46:47], s[18:19], v[12:13]
	v_fma_f64 v[38:39], v[42:43], s[12:13], v[38:39]
	v_fma_f64 v[12:13], v[42:43], s[20:21], v[12:13]
	v_add_f64 v[42:43], v[54:55], v[56:57]
	v_fma_f64 v[48:49], v[50:51], s[0:1], v[38:39]
	v_fma_f64 v[12:13], v[50:51], s[0:1], v[12:13]
	v_fma_f64 v[42:43], v[42:43], -0.5, v[14:15]
	v_add_f64 v[50:51], v[52:53], -v[54:55]
	v_add_f64 v[38:39], v[14:15], v[52:53]
	v_fma_f64 v[46:47], v[64:65], s[16:17], v[42:43]
	v_fma_f64 v[42:43], v[64:65], s[18:19], v[42:43]
	v_add_f64 v[50:51], v[50:51], v[120:121]
	v_add_f64 v[38:39], v[38:39], v[54:55]
	v_add_f64 v[120:121], v[68:69], -v[70:71]
	v_fma_f64 v[46:47], v[96:97], s[20:21], v[46:47]
	v_fma_f64 v[42:43], v[96:97], s[12:13], v[42:43]
	v_add_f64 v[38:39], v[38:39], v[56:57]
	v_fma_f64 v[46:47], v[50:51], s[0:1], v[46:47]
	v_fma_f64 v[42:43], v[50:51], s[0:1], v[42:43]
	v_add_f64 v[50:51], v[52:53], v[60:61]
	v_add_f64 v[52:53], v[54:55], -v[52:53]
	v_add_f64 v[54:55], v[56:57], -v[60:61]
	v_add_f64 v[38:39], v[38:39], v[60:61]
	v_add_f64 v[60:61], v[58:59], -v[62:63]
	v_fma_f64 v[14:15], v[50:51], -0.5, v[14:15]
	v_add_f64 v[52:53], v[52:53], v[54:55]
	v_add_f64 v[54:55], v[62:63], v[76:77]
	v_fma_f64 v[50:51], v[96:97], s[18:19], v[14:15]
	v_fma_f64 v[14:15], v[96:97], s[16:17], v[14:15]
	v_add_f64 v[96:97], v[66:67], -v[72:73]
	v_fma_f64 v[54:55], v[54:55], -0.5, v[8:9]
	v_fma_f64 v[50:51], v[64:65], s[20:21], v[50:51]
	v_fma_f64 v[14:15], v[64:65], s[12:13], v[14:15]
	v_add_f64 v[64:65], v[80:81], -v[76:77]
	v_fma_f64 v[56:57], v[96:97], s[18:19], v[54:55]
	v_fma_f64 v[54:55], v[96:97], s[16:17], v[54:55]
	v_fma_f64 v[50:51], v[52:53], s[0:1], v[50:51]
	v_fma_f64 v[14:15], v[52:53], s[0:1], v[14:15]
	v_add_f64 v[64:65], v[60:61], v[64:65]
	v_fma_f64 v[56:57], v[120:121], s[12:13], v[56:57]
	v_fma_f64 v[54:55], v[120:121], s[20:21], v[54:55]
	v_add_f64 v[52:53], v[8:9], v[58:59]
	ds_write_b128 v103, v[16:19]
	ds_write_b128 v103, v[24:27] offset:272
	ds_write_b128 v103, v[32:35] offset:544
	ds_write_b128 v103, v[28:31] offset:816
	ds_write_b128 v103, v[20:23] offset:1088
	ds_write_b128 v103, v[36:39] offset:1360
	ds_write_b128 v103, v[44:47] offset:1632
	ds_write_b128 v103, v[48:51] offset:1904
	ds_write_b128 v103, v[12:15] offset:2176
	ds_write_b128 v103, v[40:43] offset:2448
	v_and_b32_e32 v12, 0xff, v141
	v_lshl_add_u32 v157, v12, 4, v188
	v_fma_f64 v[60:61], v[64:65], s[0:1], v[56:57]
	v_fma_f64 v[56:57], v[64:65], s[0:1], v[54:55]
	v_add_f64 v[54:55], v[58:59], v[80:81]
	v_add_f64 v[52:53], v[52:53], v[62:63]
	v_add_f64 v[64:65], v[62:63], -v[58:59]
	v_fma_f64 v[8:9], v[54:55], -0.5, v[8:9]
	v_add_f64 v[52:53], v[52:53], v[76:77]
	v_add_f64 v[76:77], v[62:63], -v[76:77]
	v_add_f64 v[62:63], v[66:67], -v[68:69]
	v_add_f64 v[122:123], v[64:65], v[122:123]
	v_fma_f64 v[54:55], v[120:121], s[16:17], v[8:9]
	v_fma_f64 v[8:9], v[120:121], s[18:19], v[8:9]
	v_add_f64 v[52:53], v[52:53], v[80:81]
	v_add_f64 v[80:81], v[58:59], -v[80:81]
	v_add_f64 v[120:121], v[72:73], -v[70:71]
	v_fma_f64 v[54:55], v[96:97], s[12:13], v[54:55]
	v_fma_f64 v[8:9], v[96:97], s[20:21], v[8:9]
	v_add_f64 v[96:97], v[68:69], v[70:71]
	v_add_f64 v[120:121], v[62:63], v[120:121]
	v_fma_f64 v[64:65], v[122:123], s[0:1], v[54:55]
	v_add_f64 v[54:55], v[10:11], v[66:67]
	v_fma_f64 v[96:97], v[96:97], -0.5, v[10:11]
	v_fma_f64 v[8:9], v[122:123], s[0:1], v[8:9]
	v_add_f64 v[122:123], v[101:102], -v[168:169]
	v_add_f64 v[54:55], v[54:55], v[68:69]
	v_fma_f64 v[58:59], v[80:81], s[16:17], v[96:97]
	v_add_f64 v[54:55], v[54:55], v[70:71]
	v_fma_f64 v[58:59], v[76:77], s[20:21], v[58:59]
	;; [unrolled: 2-line block ×3, first 2 shown]
	v_fma_f64 v[58:59], v[80:81], s[18:19], v[96:97]
	v_add_f64 v[96:97], v[66:67], v[72:73]
	v_add_f64 v[66:67], v[68:69], -v[66:67]
	v_add_f64 v[68:69], v[70:71], -v[72:73]
	v_add_f64 v[70:71], v[78:79], v[101:102]
	v_fma_f64 v[58:59], v[76:77], s[12:13], v[58:59]
	v_fma_f64 v[10:11], v[96:97], -0.5, v[10:11]
	v_add_f64 v[68:69], v[66:67], v[68:69]
	v_fma_f64 v[70:71], v[70:71], -0.5, v[4:5]
	v_fma_f64 v[58:59], v[120:121], s[0:1], v[58:59]
	v_fma_f64 v[96:97], v[76:77], s[18:19], v[10:11]
	;; [unrolled: 1-line block ×3, first 2 shown]
	v_add_f64 v[120:121], v[84:85], -v[86:87]
	v_add_f64 v[76:77], v[74:75], -v[78:79]
	v_fma_f64 v[96:97], v[80:81], s[20:21], v[96:97]
	v_fma_f64 v[10:11], v[80:81], s[12:13], v[10:11]
	v_add_f64 v[80:81], v[168:169], -v[101:102]
	v_fma_f64 v[66:67], v[68:69], s[0:1], v[96:97]
	v_add_f64 v[96:97], v[82:83], -v[88:89]
	v_add_f64 v[80:81], v[76:77], v[80:81]
	v_fma_f64 v[10:11], v[68:69], s[0:1], v[10:11]
	v_add_f64 v[68:69], v[4:5], v[74:75]
	ds_write_b128 v157, v[52:55] offset:2720
	ds_write_b128 v157, v[60:63] offset:2992
	ds_write_b128 v157, v[64:67] offset:3264
	ds_write_b128 v157, v[8:11] offset:3536
	ds_write_b128 v157, v[56:59] offset:3808
	v_fma_f64 v[72:73], v[96:97], s[18:19], v[70:71]
	v_fma_f64 v[70:71], v[96:97], s[16:17], v[70:71]
	v_and_b32_e32 v8, 0xff, v142
	v_add_f64 v[68:69], v[68:69], v[78:79]
	v_lshl_add_u32 v149, v8, 4, v188
	v_fma_f64 v[72:73], v[120:121], s[12:13], v[72:73]
	v_fma_f64 v[70:71], v[120:121], s[20:21], v[70:71]
	v_add_f64 v[68:69], v[68:69], v[101:102]
	v_add_f64 v[101:102], v[78:79], -v[101:102]
	v_fma_f64 v[76:77], v[80:81], s[0:1], v[72:73]
	v_fma_f64 v[72:73], v[80:81], s[0:1], v[70:71]
	v_add_f64 v[70:71], v[74:75], v[168:169]
	v_add_f64 v[80:81], v[78:79], -v[74:75]
	v_add_f64 v[78:79], v[82:83], -v[84:85]
	v_add_f64 v[68:69], v[68:69], v[168:169]
	v_fma_f64 v[4:5], v[70:71], -0.5, v[4:5]
	v_add_f64 v[122:123], v[80:81], v[122:123]
	v_fma_f64 v[70:71], v[120:121], s[16:17], v[4:5]
	v_fma_f64 v[4:5], v[120:121], s[18:19], v[4:5]
	v_add_f64 v[120:121], v[74:75], -v[168:169]
	v_fma_f64 v[70:71], v[96:97], s[12:13], v[70:71]
	v_fma_f64 v[4:5], v[96:97], s[20:21], v[4:5]
	v_add_f64 v[96:97], v[84:85], v[86:87]
	v_fma_f64 v[80:81], v[122:123], s[0:1], v[70:71]
	v_fma_f64 v[4:5], v[122:123], s[0:1], v[4:5]
	v_fma_f64 v[96:97], v[96:97], -0.5, v[6:7]
	v_add_f64 v[122:123], v[88:89], -v[86:87]
	v_add_f64 v[70:71], v[6:7], v[82:83]
	v_fma_f64 v[74:75], v[120:121], s[16:17], v[96:97]
	v_add_f64 v[122:123], v[78:79], v[122:123]
	v_add_f64 v[70:71], v[70:71], v[84:85]
	v_fma_f64 v[74:75], v[101:102], s[20:21], v[74:75]
	v_add_f64 v[70:71], v[70:71], v[86:87]
	v_fma_f64 v[78:79], v[122:123], s[0:1], v[74:75]
	v_fma_f64 v[74:75], v[120:121], s[18:19], v[96:97]
	v_add_f64 v[96:97], v[82:83], v[88:89]
	v_add_f64 v[82:83], v[84:85], -v[82:83]
	v_add_f64 v[84:85], v[86:87], -v[88:89]
	v_add_f64 v[86:87], v[172:173], v[174:175]
	v_add_f64 v[70:71], v[70:71], v[88:89]
	v_add_f64 v[88:89], v[90:91], -v[99:100]
	v_fma_f64 v[74:75], v[101:102], s[12:13], v[74:75]
	v_fma_f64 v[6:7], v[96:97], -0.5, v[6:7]
	v_add_f64 v[84:85], v[82:83], v[84:85]
	v_fma_f64 v[86:87], v[86:87], -0.5, v[0:1]
	v_fma_f64 v[74:75], v[122:123], s[0:1], v[74:75]
	v_fma_f64 v[96:97], v[101:102], s[18:19], v[6:7]
	;; [unrolled: 1-line block ×3, first 2 shown]
	v_add_f64 v[101:102], v[92:93], -v[94:95]
	v_add_f64 v[122:123], v[176:177], -v[174:175]
	v_fma_f64 v[96:97], v[120:121], s[20:21], v[96:97]
	v_fma_f64 v[6:7], v[120:121], s[12:13], v[6:7]
	v_add_f64 v[120:121], v[170:171], -v[172:173]
	v_fma_f64 v[82:83], v[84:85], s[0:1], v[96:97]
	v_fma_f64 v[96:97], v[88:89], s[18:19], v[86:87]
	;; [unrolled: 1-line block ×3, first 2 shown]
	v_add_f64 v[122:123], v[120:121], v[122:123]
	v_fma_f64 v[6:7], v[84:85], s[0:1], v[6:7]
	v_add_f64 v[84:85], v[0:1], v[170:171]
	ds_write_b128 v149, v[68:71] offset:4080
	ds_write_b128 v149, v[76:79] offset:4352
	;; [unrolled: 1-line block ×5, first 2 shown]
	v_fma_f64 v[86:87], v[101:102], s[20:21], v[86:87]
	v_fma_f64 v[96:97], v[101:102], s[12:13], v[96:97]
	v_and_b32_e32 v4, 0xff, v143
	v_add_f64 v[84:85], v[84:85], v[172:173]
	v_lshl_add_u32 v187, v4, 4, v188
	v_fma_f64 v[124:125], v[122:123], s[0:1], v[86:87]
	v_add_f64 v[86:87], v[170:171], v[176:177]
	v_fma_f64 v[120:121], v[122:123], s[0:1], v[96:97]
	v_add_f64 v[96:97], v[172:173], -v[170:171]
	v_add_f64 v[122:123], v[174:175], -v[176:177]
	v_add_f64 v[84:85], v[84:85], v[174:175]
	v_fma_f64 v[86:87], v[86:87], -0.5, v[0:1]
	v_add_f64 v[96:97], v[96:97], v[122:123]
	v_add_f64 v[84:85], v[84:85], v[176:177]
	v_fma_f64 v[0:1], v[101:102], s[16:17], v[86:87]
	v_fma_f64 v[86:87], v[101:102], s[18:19], v[86:87]
	v_add_f64 v[101:102], v[170:171], -v[176:177]
	v_fma_f64 v[0:1], v[88:89], s[12:13], v[0:1]
	v_fma_f64 v[86:87], v[88:89], s[20:21], v[86:87]
	;; [unrolled: 1-line block ×4, first 2 shown]
	v_add_f64 v[96:97], v[92:93], v[94:95]
	v_add_f64 v[86:87], v[2:3], v[90:91]
	v_fma_f64 v[96:97], v[96:97], -0.5, v[2:3]
	v_add_f64 v[86:87], v[86:87], v[92:93]
	v_fma_f64 v[122:123], v[101:102], s[16:17], v[96:97]
	v_fma_f64 v[96:97], v[101:102], s[18:19], v[96:97]
	v_add_f64 v[86:87], v[86:87], v[94:95]
	v_fma_f64 v[122:123], v[128:129], s[20:21], v[122:123]
	v_fma_f64 v[96:97], v[128:129], s[12:13], v[96:97]
	;; [unrolled: 3-line block ×3, first 2 shown]
	v_add_f64 v[96:97], v[90:91], v[99:100]
	v_add_f64 v[90:91], v[92:93], -v[90:91]
	v_add_f64 v[92:93], v[94:95], -v[99:100]
	v_fma_f64 v[96:97], v[96:97], -0.5, v[2:3]
	v_add_f64 v[90:91], v[90:91], v[92:93]
	v_fma_f64 v[2:3], v[128:129], s[18:19], v[96:97]
	v_fma_f64 v[92:93], v[128:129], s[16:17], v[96:97]
	;; [unrolled: 1-line block ×6, first 2 shown]
	ds_write_b128 v187, v[84:87] offset:5440
	ds_write_b128 v187, v[120:123] offset:5712
	;; [unrolled: 1-line block ×5, first 2 shown]
	s_waitcnt lgkmcnt(0)
	; wave barrier
	s_waitcnt lgkmcnt(0)
	ds_read_b128 v[12:15], v103
	ds_read_b128 v[52:55], v103 offset:1360
	ds_read_b128 v[56:59], v103 offset:2720
	;; [unrolled: 1-line block ×24, first 2 shown]
	global_load_dwordx4 v[174:177], v140, s[2:3] offset:1136
	global_load_dwordx4 v[242:245], v140, s[2:3] offset:1120
	;; [unrolled: 1-line block ×4, first 2 shown]
	s_waitcnt vmcnt(0) lgkmcnt(14)
	v_mul_f64 v[76:77], v[54:55], v[122:123]
	v_fma_f64 v[140:141], v[52:53], v[120:121], -v[76:77]
	v_mul_f64 v[52:53], v[52:53], v[122:123]
	buffer_store_dword v120, off, s[60:63], 0 offset:400 ; 4-byte Folded Spill
	s_nop 0
	buffer_store_dword v121, off, s[60:63], 0 offset:404 ; 4-byte Folded Spill
	buffer_store_dword v122, off, s[60:63], 0 offset:408 ; 4-byte Folded Spill
	;; [unrolled: 1-line block ×3, first 2 shown]
	v_fma_f64 v[52:53], v[54:55], v[120:121], v[52:53]
	v_mul_f64 v[54:55], v[58:59], v[254:255]
	v_fma_f64 v[142:143], v[56:57], v[252:253], -v[54:55]
	v_mul_f64 v[54:55], v[56:57], v[254:255]
	v_fma_f64 v[56:57], v[58:59], v[252:253], v[54:55]
	v_mul_f64 v[54:55], v[62:63], v[244:245]
	v_fma_f64 v[248:249], v[60:61], v[242:243], -v[54:55]
	v_mul_f64 v[54:55], v[60:61], v[244:245]
	;; [unrolled: 4-line block ×3, first 2 shown]
	v_fma_f64 v[76:77], v[66:67], v[174:175], v[54:55]
	v_lshlrev_b32_e32 v54, 6, v167
	global_load_dwordx4 v[120:123], v54, s[2:3] offset:1136
	global_load_dwordx4 v[124:127], v54, s[2:3] offset:1120
	;; [unrolled: 1-line block ×4, first 2 shown]
	s_waitcnt vmcnt(1)
	v_mul_f64 v[62:63], v[74:75], v[66:67]
	s_waitcnt vmcnt(0)
	v_mul_f64 v[54:55], v[70:71], v[130:131]
	v_mul_f64 v[58:59], v[68:69], v[130:131]
	v_fma_f64 v[54:55], v[68:69], v[128:129], -v[54:55]
	buffer_store_dword v128, off, s[60:63], 0 offset:464 ; 4-byte Folded Spill
	s_nop 0
	buffer_store_dword v129, off, s[60:63], 0 offset:468 ; 4-byte Folded Spill
	buffer_store_dword v130, off, s[60:63], 0 offset:472 ; 4-byte Folded Spill
	;; [unrolled: 1-line block ×3, first 2 shown]
	v_fma_f64 v[68:69], v[72:73], v[64:65], -v[62:63]
	v_mul_f64 v[62:63], v[72:73], v[66:67]
	buffer_store_dword v64, off, s[60:63], 0 offset:448 ; 4-byte Folded Spill
	s_nop 0
	buffer_store_dword v65, off, s[60:63], 0 offset:452 ; 4-byte Folded Spill
	buffer_store_dword v66, off, s[60:63], 0 offset:456 ; 4-byte Folded Spill
	;; [unrolled: 1-line block ×3, first 2 shown]
	v_mul_f64 v[66:67], v[84:85], v[122:123]
	v_fma_f64 v[58:59], v[70:71], v[128:129], v[58:59]
	v_lshlrev_b32_e32 v70, 6, v150
	v_fma_f64 v[62:63], v[74:75], v[64:65], v[62:63]
	v_mul_f64 v[64:65], v[80:81], v[126:127]
	v_fma_f64 v[72:73], v[78:79], v[124:125], -v[64:65]
	v_mul_f64 v[64:65], v[78:79], v[126:127]
	buffer_store_dword v124, off, s[60:63], 0 offset:432 ; 4-byte Folded Spill
	s_nop 0
	buffer_store_dword v125, off, s[60:63], 0 offset:436 ; 4-byte Folded Spill
	buffer_store_dword v126, off, s[60:63], 0 offset:440 ; 4-byte Folded Spill
	;; [unrolled: 1-line block ×3, first 2 shown]
	v_fma_f64 v[64:65], v[80:81], v[124:125], v[64:65]
	v_fma_f64 v[80:81], v[82:83], v[120:121], -v[66:67]
	v_mul_f64 v[66:67], v[82:83], v[122:123]
	buffer_store_dword v120, off, s[60:63], 0 offset:416 ; 4-byte Folded Spill
	s_nop 0
	buffer_store_dword v121, off, s[60:63], 0 offset:420 ; 4-byte Folded Spill
	buffer_store_dword v122, off, s[60:63], 0 offset:424 ; 4-byte Folded Spill
	buffer_store_dword v123, off, s[60:63], 0 offset:428 ; 4-byte Folded Spill
	v_fma_f64 v[66:67], v[84:85], v[120:121], v[66:67]
	global_load_dwordx4 v[120:123], v70, s[2:3] offset:1136
	global_load_dwordx4 v[124:127], v70, s[2:3] offset:1120
	;; [unrolled: 1-line block ×4, first 2 shown]
	s_waitcnt vmcnt(0) lgkmcnt(13)
	v_mul_f64 v[70:71], v[88:89], v[84:85]
	v_mul_f64 v[74:75], v[86:87], v[84:85]
	v_fma_f64 v[70:71], v[86:87], v[82:83], -v[70:71]
	buffer_store_dword v82, off, s[60:63], 0 offset:528 ; 4-byte Folded Spill
	s_nop 0
	buffer_store_dword v83, off, s[60:63], 0 offset:532 ; 4-byte Folded Spill
	buffer_store_dword v84, off, s[60:63], 0 offset:536 ; 4-byte Folded Spill
	;; [unrolled: 1-line block ×3, first 2 shown]
	s_waitcnt lgkmcnt(11)
	v_mul_f64 v[84:85], v[96:97], v[126:127]
	s_waitcnt lgkmcnt(10)
	v_mul_f64 v[86:87], v[101:102], v[122:123]
	v_fma_f64 v[138:139], v[99:100], v[120:121], -v[86:87]
	v_mul_f64 v[86:87], v[99:100], v[122:123]
	v_fma_f64 v[78:79], v[88:89], v[82:83], v[74:75]
	v_mul_f64 v[74:75], v[92:93], v[130:131]
	v_mul_f64 v[82:83], v[90:91], v[130:131]
	v_fma_f64 v[88:89], v[94:95], v[124:125], -v[84:85]
	v_mul_f64 v[84:85], v[94:95], v[126:127]
	v_fma_f64 v[74:75], v[90:91], v[128:129], -v[74:75]
	buffer_store_dword v128, off, s[60:63], 0 offset:512 ; 4-byte Folded Spill
	s_nop 0
	buffer_store_dword v129, off, s[60:63], 0 offset:516 ; 4-byte Folded Spill
	buffer_store_dword v130, off, s[60:63], 0 offset:520 ; 4-byte Folded Spill
	buffer_store_dword v131, off, s[60:63], 0 offset:524 ; 4-byte Folded Spill
	buffer_store_dword v124, off, s[60:63], 0 offset:496 ; 4-byte Folded Spill
	s_nop 0
	buffer_store_dword v125, off, s[60:63], 0 offset:500 ; 4-byte Folded Spill
	buffer_store_dword v126, off, s[60:63], 0 offset:504 ; 4-byte Folded Spill
	buffer_store_dword v127, off, s[60:63], 0 offset:508 ; 4-byte Folded Spill
	buffer_store_dword v120, off, s[60:63], 0 offset:480 ; 4-byte Folded Spill
	s_nop 0
	buffer_store_dword v121, off, s[60:63], 0 offset:484 ; 4-byte Folded Spill
	buffer_store_dword v122, off, s[60:63], 0 offset:488 ; 4-byte Folded Spill
	buffer_store_dword v123, off, s[60:63], 0 offset:492 ; 4-byte Folded Spill
	v_lshlrev_b32_e32 v90, 6, v145
	v_fma_f64 v[82:83], v[92:93], v[128:129], v[82:83]
	v_fma_f64 v[84:85], v[96:97], v[124:125], v[84:85]
	;; [unrolled: 1-line block ×3, first 2 shown]
	global_load_dwordx4 v[120:123], v90, s[2:3] offset:1136
	global_load_dwordx4 v[99:102], v90, s[2:3] offset:1120
	;; [unrolled: 1-line block ×4, first 2 shown]
	s_waitcnt vmcnt(0) lgkmcnt(8)
	v_mul_f64 v[90:91], v[50:51], v[126:127]
	v_fma_f64 v[90:91], v[48:49], v[124:125], -v[90:91]
	v_mul_f64 v[48:49], v[48:49], v[126:127]
	buffer_store_dword v124, off, s[60:63], 0 offset:592 ; 4-byte Folded Spill
	s_nop 0
	buffer_store_dword v125, off, s[60:63], 0 offset:596 ; 4-byte Folded Spill
	buffer_store_dword v126, off, s[60:63], 0 offset:600 ; 4-byte Folded Spill
	;; [unrolled: 1-line block ×3, first 2 shown]
	v_fma_f64 v[92:93], v[50:51], v[124:125], v[48:49]
	s_waitcnt lgkmcnt(7)
	v_mul_f64 v[48:49], v[46:47], v[96:97]
	v_add_f64 v[50:51], v[80:81], -v[72:73]
	v_fma_f64 v[124:125], v[44:45], v[94:95], -v[48:49]
	v_mul_f64 v[44:45], v[44:45], v[96:97]
	buffer_store_dword v94, off, s[60:63], 0 offset:576 ; 4-byte Folded Spill
	s_nop 0
	buffer_store_dword v95, off, s[60:63], 0 offset:580 ; 4-byte Folded Spill
	buffer_store_dword v96, off, s[60:63], 0 offset:584 ; 4-byte Folded Spill
	;; [unrolled: 1-line block ×3, first 2 shown]
	v_fma_f64 v[94:95], v[46:47], v[94:95], v[44:45]
	s_waitcnt lgkmcnt(6)
	v_mul_f64 v[44:45], v[42:43], v[101:102]
	v_fma_f64 v[126:127], v[40:41], v[99:100], -v[44:45]
	v_mul_f64 v[40:41], v[40:41], v[101:102]
	buffer_store_dword v99, off, s[60:63], 0 offset:560 ; 4-byte Folded Spill
	s_nop 0
	buffer_store_dword v100, off, s[60:63], 0 offset:564 ; 4-byte Folded Spill
	buffer_store_dword v101, off, s[60:63], 0 offset:568 ; 4-byte Folded Spill
	buffer_store_dword v102, off, s[60:63], 0 offset:572 ; 4-byte Folded Spill
	v_fma_f64 v[99:100], v[42:43], v[99:100], v[40:41]
	s_waitcnt lgkmcnt(5)
	v_mul_f64 v[40:41], v[38:39], v[122:123]
	v_fma_f64 v[128:129], v[36:37], v[120:121], -v[40:41]
	v_mul_f64 v[36:37], v[36:37], v[122:123]
	buffer_store_dword v120, off, s[60:63], 0 offset:544 ; 4-byte Folded Spill
	s_nop 0
	buffer_store_dword v121, off, s[60:63], 0 offset:548 ; 4-byte Folded Spill
	buffer_store_dword v122, off, s[60:63], 0 offset:552 ; 4-byte Folded Spill
	;; [unrolled: 1-line block ×3, first 2 shown]
	v_fma_f64 v[101:102], v[38:39], v[120:121], v[36:37]
	v_lshlrev_b32_e32 v36, 6, v144
	global_load_dwordx4 v[38:41], v36, s[2:3] offset:1136
	global_load_dwordx4 v[42:45], v36, s[2:3] offset:1120
	;; [unrolled: 1-line block ×4, first 2 shown]
	s_waitcnt vmcnt(0) lgkmcnt(3)
	v_mul_f64 v[36:37], v[34:35], v[122:123]
	v_fma_f64 v[130:131], v[32:33], v[120:121], -v[36:37]
	v_mul_f64 v[32:33], v[32:33], v[122:123]
	buffer_store_dword v120, off, s[60:63], 0 offset:656 ; 4-byte Folded Spill
	s_nop 0
	buffer_store_dword v121, off, s[60:63], 0 offset:660 ; 4-byte Folded Spill
	buffer_store_dword v122, off, s[60:63], 0 offset:664 ; 4-byte Folded Spill
	;; [unrolled: 1-line block ×3, first 2 shown]
	v_add_f64 v[36:37], v[248:249], -v[250:251]
	v_fma_f64 v[96:97], v[34:35], v[120:121], v[32:33]
	s_waitcnt lgkmcnt(2)
	v_mul_f64 v[32:33], v[30:31], v[48:49]
	v_add_f64 v[34:35], v[250:251], -v[248:249]
	v_fma_f64 v[132:133], v[28:29], v[46:47], -v[32:33]
	v_mul_f64 v[28:29], v[28:29], v[48:49]
	buffer_store_dword v46, off, s[60:63], 0 offset:640 ; 4-byte Folded Spill
	s_nop 0
	buffer_store_dword v47, off, s[60:63], 0 offset:644 ; 4-byte Folded Spill
	buffer_store_dword v48, off, s[60:63], 0 offset:648 ; 4-byte Folded Spill
	;; [unrolled: 1-line block ×3, first 2 shown]
	v_add_f64 v[32:33], v[140:141], -v[142:143]
	v_add_f64 v[48:49], v[54:55], -v[68:69]
	v_add_f64 v[34:35], v[32:33], v[34:35]
	v_add_f64 v[48:49], v[48:49], v[50:51]
	v_add_f64 v[50:51], v[72:73], -v[80:81]
	v_fma_f64 v[120:121], v[30:31], v[46:47], v[28:29]
	s_waitcnt lgkmcnt(1)
	v_mul_f64 v[28:29], v[26:27], v[44:45]
	v_add_f64 v[30:31], v[56:57], -v[60:61]
	v_add_f64 v[46:47], v[62:63], -v[64:65]
	v_fma_f64 v[134:135], v[24:25], v[42:43], -v[28:29]
	v_mul_f64 v[24:25], v[24:25], v[44:45]
	buffer_store_dword v42, off, s[60:63], 0 offset:624 ; 4-byte Folded Spill
	s_nop 0
	buffer_store_dword v43, off, s[60:63], 0 offset:628 ; 4-byte Folded Spill
	buffer_store_dword v44, off, s[60:63], 0 offset:632 ; 4-byte Folded Spill
	;; [unrolled: 1-line block ×3, first 2 shown]
	v_add_f64 v[44:45], v[60:61], -v[76:77]
	v_fma_f64 v[122:123], v[26:27], v[42:43], v[24:25]
	s_waitcnt lgkmcnt(0)
	v_mul_f64 v[24:25], v[22:23], v[40:41]
	v_add_f64 v[26:27], v[52:53], -v[76:77]
	v_add_f64 v[42:43], v[142:143], -v[248:249]
	v_fma_f64 v[136:137], v[20:21], v[38:39], -v[24:25]
	v_mul_f64 v[20:21], v[20:21], v[40:41]
	buffer_store_dword v38, off, s[60:63], 0 offset:608 ; 4-byte Folded Spill
	s_nop 0
	buffer_store_dword v39, off, s[60:63], 0 offset:612 ; 4-byte Folded Spill
	buffer_store_dword v40, off, s[60:63], 0 offset:616 ; 4-byte Folded Spill
	;; [unrolled: 1-line block ×3, first 2 shown]
	v_fma_f64 v[22:23], v[22:23], v[38:39], v[20:21]
	v_add_f64 v[20:21], v[12:13], v[140:141]
	v_add_f64 v[38:39], v[76:77], -v[60:61]
	v_add_f64 v[20:21], v[20:21], v[142:143]
	v_add_f64 v[20:21], v[20:21], v[248:249]
	;; [unrolled: 1-line block ×4, first 2 shown]
	v_fma_f64 v[20:21], v[20:21], -0.5, v[12:13]
	v_fma_f64 v[28:29], v[26:27], s[18:19], v[20:21]
	v_fma_f64 v[20:21], v[26:27], s[16:17], v[20:21]
	v_fma_f64 v[28:29], v[30:31], s[12:13], v[28:29]
	v_fma_f64 v[20:21], v[30:31], s[20:21], v[20:21]
	v_fma_f64 v[32:33], v[34:35], s[0:1], v[28:29]
	v_fma_f64 v[28:29], v[34:35], s[0:1], v[20:21]
	v_add_f64 v[20:21], v[140:141], v[250:251]
	v_add_f64 v[34:35], v[142:143], -v[140:141]
	v_fma_f64 v[12:13], v[20:21], -0.5, v[12:13]
	v_add_f64 v[34:35], v[34:35], v[36:37]
	v_fma_f64 v[20:21], v[30:31], s[16:17], v[12:13]
	v_fma_f64 v[12:13], v[30:31], s[18:19], v[12:13]
	;; [unrolled: 1-line block ×6, first 2 shown]
	v_add_f64 v[12:13], v[14:15], v[52:53]
	v_add_f64 v[20:21], v[140:141], -v[250:251]
	v_add_f64 v[34:35], v[52:53], -v[56:57]
	v_add_f64 v[12:13], v[12:13], v[56:57]
	v_add_f64 v[38:39], v[34:35], v[38:39]
	;; [unrolled: 1-line block ×5, first 2 shown]
	ds_write_b128 v103, v[24:27]
	v_fma_f64 v[12:13], v[12:13], -0.5, v[14:15]
	v_mov_b32_e32 v25, s5
	v_fma_f64 v[30:31], v[20:21], s[16:17], v[12:13]
	v_fma_f64 v[12:13], v[20:21], s[18:19], v[12:13]
	;; [unrolled: 1-line block ×6, first 2 shown]
	v_add_f64 v[12:13], v[52:53], v[76:77]
	v_add_f64 v[38:39], v[56:57], -v[52:53]
	v_fma_f64 v[12:13], v[12:13], -0.5, v[14:15]
	v_add_f64 v[44:45], v[38:39], v[44:45]
	v_fma_f64 v[14:15], v[42:43], s[18:19], v[12:13]
	v_fma_f64 v[12:13], v[42:43], s[16:17], v[12:13]
	;; [unrolled: 1-line block ×6, first 2 shown]
	v_add_f64 v[12:13], v[8:9], v[54:55]
	v_add_f64 v[14:15], v[58:59], -v[66:67]
	v_add_f64 v[12:13], v[12:13], v[68:69]
	v_add_f64 v[12:13], v[12:13], v[72:73]
	v_add_f64 v[44:45], v[12:13], v[80:81]
	v_add_f64 v[12:13], v[68:69], v[72:73]
	v_fma_f64 v[12:13], v[12:13], -0.5, v[8:9]
	v_fma_f64 v[20:21], v[14:15], s[18:19], v[12:13]
	v_fma_f64 v[12:13], v[14:15], s[16:17], v[12:13]
	;; [unrolled: 1-line block ×6, first 2 shown]
	v_add_f64 v[12:13], v[54:55], v[80:81]
	v_add_f64 v[20:21], v[68:69], -v[54:55]
	v_fma_f64 v[8:9], v[12:13], -0.5, v[8:9]
	v_add_f64 v[20:21], v[20:21], v[50:51]
	v_add_f64 v[50:51], v[58:59], -v[62:63]
	v_fma_f64 v[12:13], v[46:47], s[16:17], v[8:9]
	v_fma_f64 v[8:9], v[46:47], s[18:19], v[8:9]
	;; [unrolled: 1-line block ×6, first 2 shown]
	v_add_f64 v[8:9], v[10:11], v[58:59]
	v_add_f64 v[12:13], v[54:55], -v[80:81]
	v_add_f64 v[20:21], v[68:69], -v[72:73]
	;; [unrolled: 1-line block ×3, first 2 shown]
	v_add_f64 v[8:9], v[8:9], v[62:63]
	v_add_f64 v[50:51], v[50:51], v[54:55]
	v_add_f64 v[8:9], v[8:9], v[64:65]
	v_add_f64 v[46:47], v[8:9], v[66:67]
	v_add_f64 v[8:9], v[62:63], v[64:65]
	v_fma_f64 v[8:9], v[8:9], -0.5, v[10:11]
	v_fma_f64 v[14:15], v[12:13], s[16:17], v[8:9]
	v_fma_f64 v[8:9], v[12:13], s[18:19], v[8:9]
	;; [unrolled: 1-line block ×6, first 2 shown]
	v_add_f64 v[8:9], v[58:59], v[66:67]
	v_add_f64 v[14:15], v[62:63], -v[58:59]
	v_add_f64 v[58:59], v[64:65], -v[66:67]
	;; [unrolled: 1-line block ×3, first 2 shown]
	v_fma_f64 v[8:9], v[8:9], -0.5, v[10:11]
	v_add_f64 v[14:15], v[14:15], v[58:59]
	v_fma_f64 v[10:11], v[20:21], s[18:19], v[8:9]
	v_fma_f64 v[8:9], v[20:21], s[16:17], v[8:9]
	v_add_f64 v[20:21], v[70:71], -v[74:75]
	v_fma_f64 v[10:11], v[12:13], s[20:21], v[10:11]
	v_fma_f64 v[8:9], v[12:13], s[12:13], v[8:9]
	v_add_f64 v[20:21], v[20:21], v[66:67]
	v_fma_f64 v[62:63], v[14:15], s[0:1], v[10:11]
	v_fma_f64 v[58:59], v[14:15], s[0:1], v[8:9]
	v_add_f64 v[8:9], v[4:5], v[70:71]
	v_add_f64 v[10:11], v[78:79], -v[86:87]
	v_add_f64 v[14:15], v[82:83], -v[84:85]
	v_add_f64 v[8:9], v[8:9], v[74:75]
	v_add_f64 v[8:9], v[8:9], v[88:89]
	;; [unrolled: 1-line block ×4, first 2 shown]
	v_fma_f64 v[8:9], v[8:9], -0.5, v[4:5]
	v_fma_f64 v[12:13], v[10:11], s[18:19], v[8:9]
	v_fma_f64 v[8:9], v[10:11], s[16:17], v[8:9]
	;; [unrolled: 1-line block ×6, first 2 shown]
	v_add_f64 v[8:9], v[70:71], v[138:139]
	v_add_f64 v[12:13], v[74:75], -v[70:71]
	v_add_f64 v[20:21], v[88:89], -v[138:139]
	v_fma_f64 v[4:5], v[8:9], -0.5, v[4:5]
	v_add_f64 v[12:13], v[12:13], v[20:21]
	v_add_f64 v[20:21], v[86:87], -v[84:85]
	v_fma_f64 v[8:9], v[14:15], s[16:17], v[4:5]
	v_fma_f64 v[4:5], v[14:15], s[18:19], v[4:5]
	v_add_f64 v[14:15], v[78:79], -v[82:83]
	v_fma_f64 v[8:9], v[10:11], s[12:13], v[8:9]
	v_fma_f64 v[4:5], v[10:11], s[20:21], v[4:5]
	v_add_f64 v[14:15], v[14:15], v[20:21]
	v_add_f64 v[20:21], v[136:137], -v[134:135]
	v_fma_f64 v[80:81], v[12:13], s[0:1], v[8:9]
	v_fma_f64 v[76:77], v[12:13], s[0:1], v[4:5]
	v_add_f64 v[4:5], v[6:7], v[78:79]
	v_add_f64 v[8:9], v[70:71], -v[138:139]
	v_add_f64 v[12:13], v[74:75], -v[88:89]
	v_add_f64 v[4:5], v[4:5], v[82:83]
	v_add_f64 v[4:5], v[4:5], v[84:85]
	;; [unrolled: 1-line block ×4, first 2 shown]
	v_fma_f64 v[4:5], v[4:5], -0.5, v[6:7]
	v_fma_f64 v[10:11], v[8:9], s[16:17], v[4:5]
	v_fma_f64 v[4:5], v[8:9], s[18:19], v[4:5]
	;; [unrolled: 1-line block ×6, first 2 shown]
	v_add_f64 v[4:5], v[78:79], v[86:87]
	v_add_f64 v[10:11], v[82:83], -v[78:79]
	v_add_f64 v[14:15], v[84:85], -v[86:87]
	v_fma_f64 v[4:5], v[4:5], -0.5, v[6:7]
	v_add_f64 v[10:11], v[10:11], v[14:15]
	v_add_f64 v[14:15], v[128:129], -v[126:127]
	v_fma_f64 v[6:7], v[12:13], s[18:19], v[4:5]
	v_fma_f64 v[4:5], v[12:13], s[16:17], v[4:5]
	v_add_f64 v[12:13], v[90:91], -v[124:125]
	v_fma_f64 v[6:7], v[8:9], s[20:21], v[6:7]
	v_fma_f64 v[4:5], v[8:9], s[12:13], v[4:5]
	v_add_f64 v[12:13], v[12:13], v[14:15]
	v_add_f64 v[14:15], v[101:102], -v[99:100]
	v_fma_f64 v[82:83], v[10:11], s[0:1], v[6:7]
	v_fma_f64 v[78:79], v[10:11], s[0:1], v[4:5]
	v_add_f64 v[4:5], v[0:1], v[90:91]
	v_add_f64 v[6:7], v[92:93], -v[101:102]
	v_add_f64 v[10:11], v[94:95], -v[99:100]
	v_add_f64 v[4:5], v[4:5], v[124:125]
	v_add_f64 v[4:5], v[4:5], v[126:127]
	;; [unrolled: 1-line block ×4, first 2 shown]
	v_fma_f64 v[4:5], v[4:5], -0.5, v[0:1]
	v_fma_f64 v[8:9], v[6:7], s[18:19], v[4:5]
	v_fma_f64 v[4:5], v[6:7], s[16:17], v[4:5]
	;; [unrolled: 1-line block ×6, first 2 shown]
	v_add_f64 v[4:5], v[90:91], v[128:129]
	v_add_f64 v[8:9], v[124:125], -v[90:91]
	v_add_f64 v[12:13], v[126:127], -v[128:129]
	v_fma_f64 v[0:1], v[4:5], -0.5, v[0:1]
	v_add_f64 v[8:9], v[8:9], v[12:13]
	v_add_f64 v[12:13], v[92:93], -v[94:95]
	v_fma_f64 v[4:5], v[10:11], s[16:17], v[0:1]
	v_fma_f64 v[0:1], v[10:11], s[18:19], v[0:1]
	v_add_f64 v[10:11], v[124:125], -v[126:127]
	v_add_f64 v[12:13], v[12:13], v[14:15]
	v_add_f64 v[14:15], v[120:121], -v[122:123]
	v_fma_f64 v[4:5], v[6:7], s[12:13], v[4:5]
	v_fma_f64 v[0:1], v[6:7], s[20:21], v[0:1]
	v_add_f64 v[6:7], v[90:91], -v[128:129]
	v_fma_f64 v[248:249], v[8:9], s[0:1], v[4:5]
	v_add_f64 v[4:5], v[2:3], v[92:93]
	v_fma_f64 v[142:143], v[8:9], s[0:1], v[0:1]
	v_add_f64 v[4:5], v[4:5], v[94:95]
	v_add_f64 v[4:5], v[4:5], v[99:100]
	;; [unrolled: 1-line block ×4, first 2 shown]
	v_fma_f64 v[4:5], v[4:5], -0.5, v[2:3]
	v_fma_f64 v[8:9], v[6:7], s[16:17], v[4:5]
	v_fma_f64 v[4:5], v[6:7], s[18:19], v[4:5]
	;; [unrolled: 1-line block ×6, first 2 shown]
	v_add_f64 v[4:5], v[92:93], v[101:102]
	v_add_f64 v[8:9], v[94:95], -v[92:93]
	v_add_f64 v[12:13], v[99:100], -v[101:102]
	;; [unrolled: 1-line block ×6, first 2 shown]
	v_fma_f64 v[2:3], v[4:5], -0.5, v[2:3]
	v_add_f64 v[8:9], v[8:9], v[12:13]
	v_add_f64 v[12:13], v[130:131], -v[132:133]
	v_add_f64 v[99:100], v[99:100], v[101:102]
	v_fma_f64 v[4:5], v[10:11], s[18:19], v[2:3]
	v_fma_f64 v[2:3], v[10:11], s[16:17], v[2:3]
	v_add_f64 v[10:11], v[96:97], -v[22:23]
	v_add_f64 v[12:13], v[12:13], v[20:21]
	v_add_f64 v[20:21], v[132:133], -v[130:131]
	v_fma_f64 v[4:5], v[6:7], s[20:21], v[4:5]
	v_fma_f64 v[2:3], v[6:7], s[12:13], v[2:3]
	v_add_f64 v[6:7], v[132:133], v[134:135]
	v_add_f64 v[20:21], v[20:21], v[92:93]
	v_add_f64 v[92:93], v[130:131], -v[136:137]
	v_fma_f64 v[250:251], v[8:9], s[0:1], v[4:5]
	v_fma_f64 v[144:145], v[8:9], s[0:1], v[2:3]
	v_fma_f64 v[6:7], v[6:7], -0.5, v[16:17]
	v_mov_b32_e32 v0, v138
	v_mov_b32_e32 v1, v139
	;; [unrolled: 1-line block ×4, first 2 shown]
	v_add_f64 v[4:5], v[16:17], v[130:131]
	v_fma_f64 v[8:9], v[10:11], s[18:19], v[6:7]
	v_fma_f64 v[6:7], v[10:11], s[16:17], v[6:7]
	v_add_f64 v[4:5], v[4:5], v[132:133]
	v_fma_f64 v[8:9], v[14:15], s[12:13], v[8:9]
	v_fma_f64 v[6:7], v[14:15], s[20:21], v[6:7]
	;; [unrolled: 3-line block ×3, first 2 shown]
	v_add_f64 v[6:7], v[130:131], v[136:137]
	v_add_f64 v[124:125], v[4:5], v[136:137]
	v_fma_f64 v[6:7], v[6:7], -0.5, v[16:17]
	v_fma_f64 v[16:17], v[14:15], s[16:17], v[6:7]
	v_fma_f64 v[6:7], v[14:15], s[18:19], v[6:7]
	v_fma_f64 v[16:17], v[10:11], s[12:13], v[16:17]
	v_fma_f64 v[6:7], v[10:11], s[20:21], v[6:7]
	v_add_f64 v[10:11], v[120:121], v[122:123]
	v_fma_f64 v[150:151], v[20:21], s[0:1], v[16:17]
	v_fma_f64 v[158:159], v[20:21], s[0:1], v[6:7]
	v_fma_f64 v[14:15], v[10:11], -0.5, v[18:19]
	v_add_f64 v[6:7], v[18:19], v[96:97]
	v_fma_f64 v[10:11], v[92:93], s[16:17], v[14:15]
	v_fma_f64 v[14:15], v[92:93], s[18:19], v[14:15]
	v_add_f64 v[6:7], v[6:7], v[120:121]
	v_fma_f64 v[10:11], v[94:95], s[20:21], v[10:11]
	v_fma_f64 v[14:15], v[94:95], s[12:13], v[14:15]
	;; [unrolled: 3-line block ×3, first 2 shown]
	v_add_f64 v[99:100], v[96:97], v[22:23]
	v_add_f64 v[126:127], v[6:7], v[22:23]
	v_add_f64 v[96:97], v[120:121], -v[96:97]
	v_add_f64 v[22:23], v[122:123], -v[22:23]
	v_mov_b32_e32 v4, v142
	v_mov_b32_e32 v8, v124
	;; [unrolled: 1-line block ×4, first 2 shown]
	v_fma_f64 v[99:100], v[99:100], -0.5, v[18:19]
	v_mov_b32_e32 v6, v144
	v_mov_b32_e32 v7, v145
	v_add_f64 v[22:23], v[96:97], v[22:23]
	v_mov_b32_e32 v9, v125
	v_mov_b32_e32 v10, v126
	;; [unrolled: 1-line block ×4, first 2 shown]
	v_fma_f64 v[18:19], v[94:95], s[18:19], v[99:100]
	v_fma_f64 v[94:95], v[94:95], s[16:17], v[99:100]
	v_mov_b32_e32 v14, v130
	v_mov_b32_e32 v15, v131
	v_fma_f64 v[18:19], v[92:93], s[20:21], v[18:19]
	v_fma_f64 v[92:93], v[92:93], s[12:13], v[94:95]
	;; [unrolled: 1-line block ×4, first 2 shown]
	v_mov_b32_e32 v20, v150
	v_mov_b32_e32 v21, v151
	v_add_co_u32_e64 v24, s[0:1], s4, v98
	v_addc_co_u32_e64 v25, s[0:1], 0, v25, s[0:1]
	v_mov_b32_e32 v22, v152
	v_mov_b32_e32 v23, v153
	v_lshl_add_u32 v150, v198, 4, v188
	ds_write_b128 v150, v[32:35] offset:1360
	ds_write_b128 v150, v[36:39] offset:2720
	;; [unrolled: 1-line block ×22, first 2 shown]
	buffer_store_dword v158, off, s[60:63], 0 offset:676 ; 4-byte Folded Spill
	s_nop 0
	buffer_store_dword v159, off, s[60:63], 0 offset:680 ; 4-byte Folded Spill
	buffer_store_dword v160, off, s[60:63], 0 offset:684 ; 4-byte Folded Spill
	;; [unrolled: 1-line block ×3, first 2 shown]
	ds_write_b128 v103, v[158:161] offset:5168
	ds_write_b128 v103, v[138:141] offset:6528
	s_waitcnt lgkmcnt(0)
	; wave barrier
	s_waitcnt lgkmcnt(0)
	global_load_dwordx4 v[30:33], v98, s[4:5]
	ds_read_b128 v[26:29], v103
	s_movk_i32 s0, 0x1000
	v_mov_b32_e32 v16, v138
	v_mov_b32_e32 v17, v139
	v_mov_b32_e32 v18, v140
	v_mov_b32_e32 v19, v141
	s_waitcnt vmcnt(0) lgkmcnt(0)
	v_mul_f64 v[34:35], v[28:29], v[32:33]
	v_fma_f64 v[34:35], v[26:27], v[30:31], -v[34:35]
	v_mul_f64 v[26:27], v[26:27], v[32:33]
	v_fma_f64 v[36:37], v[28:29], v[30:31], v[26:27]
	global_load_dwordx4 v[30:33], v98, s[4:5] offset:400
	ds_read_b128 v[26:29], v103 offset:400
	ds_write_b128 v103, v[34:37]
	s_waitcnt vmcnt(0) lgkmcnt(1)
	v_mul_f64 v[34:35], v[28:29], v[32:33]
	v_fma_f64 v[34:35], v[26:27], v[30:31], -v[34:35]
	v_mul_f64 v[26:27], v[26:27], v[32:33]
	v_fma_f64 v[36:37], v[28:29], v[30:31], v[26:27]
	global_load_dwordx4 v[30:33], v98, s[4:5] offset:800
	ds_read_b128 v[26:29], v103 offset:800
	ds_write_b128 v103, v[34:37] offset:400
	s_waitcnt vmcnt(0) lgkmcnt(1)
	v_mul_f64 v[34:35], v[28:29], v[32:33]
	v_fma_f64 v[34:35], v[26:27], v[30:31], -v[34:35]
	v_mul_f64 v[26:27], v[26:27], v[32:33]
	v_fma_f64 v[36:37], v[28:29], v[30:31], v[26:27]
	global_load_dwordx4 v[30:33], v98, s[4:5] offset:1200
	ds_read_b128 v[26:29], v103 offset:1200
	ds_write_b128 v103, v[34:37] offset:800
	;; [unrolled: 8-line block ×9, first 2 shown]
	s_waitcnt vmcnt(0) lgkmcnt(1)
	v_mul_f64 v[34:35], v[28:29], v[32:33]
	v_fma_f64 v[34:35], v[26:27], v[30:31], -v[34:35]
	v_mul_f64 v[26:27], v[26:27], v[32:33]
	v_fma_f64 v[36:37], v[28:29], v[30:31], v[26:27]
	v_add_co_u32_e64 v26, s[0:1], s0, v24
	v_addc_co_u32_e64 v27, s[0:1], 0, v25, s[0:1]
	ds_read_b128 v[28:31], v103 offset:4400
	ds_write_b128 v103, v[34:37] offset:4000
	global_load_dwordx4 v[32:35], v[26:27], off offset:304
	s_waitcnt vmcnt(0) lgkmcnt(1)
	v_mul_f64 v[36:37], v[30:31], v[34:35]
	v_fma_f64 v[36:37], v[28:29], v[32:33], -v[36:37]
	v_mul_f64 v[28:29], v[28:29], v[34:35]
	v_fma_f64 v[38:39], v[30:31], v[32:33], v[28:29]
	global_load_dwordx4 v[32:35], v[26:27], off offset:704
	ds_read_b128 v[28:31], v103 offset:4800
	ds_write_b128 v103, v[36:39] offset:4400
	s_waitcnt vmcnt(0) lgkmcnt(1)
	v_mul_f64 v[36:37], v[30:31], v[34:35]
	v_fma_f64 v[36:37], v[28:29], v[32:33], -v[36:37]
	v_mul_f64 v[28:29], v[28:29], v[34:35]
	v_fma_f64 v[38:39], v[30:31], v[32:33], v[28:29]
	global_load_dwordx4 v[32:35], v[26:27], off offset:1104
	ds_read_b128 v[28:31], v103 offset:5200
	ds_write_b128 v103, v[36:39] offset:4800
	;; [unrolled: 8-line block ×5, first 2 shown]
	s_waitcnt vmcnt(0) lgkmcnt(1)
	v_mul_f64 v[36:37], v[30:31], v[34:35]
	v_fma_f64 v[36:37], v[28:29], v[32:33], -v[36:37]
	v_mul_f64 v[28:29], v[28:29], v[34:35]
	v_fma_f64 v[38:39], v[30:31], v[32:33], v[28:29]
	ds_write_b128 v103, v[36:39] offset:6400
	s_and_saveexec_b64 s[0:1], vcc
	s_cbranch_execz .LBB0_9
; %bb.8:
	global_load_dwordx4 v[32:35], v[24:25], off offset:272
	ds_read_b128 v[28:31], v150 offset:272
	s_waitcnt vmcnt(0) lgkmcnt(0)
	v_mul_f64 v[36:37], v[30:31], v[34:35]
	v_fma_f64 v[36:37], v[28:29], v[32:33], -v[36:37]
	v_mul_f64 v[28:29], v[28:29], v[34:35]
	v_fma_f64 v[38:39], v[30:31], v[32:33], v[28:29]
	global_load_dwordx4 v[32:35], v[24:25], off offset:672
	ds_write_b128 v150, v[36:39] offset:272
	ds_read_b128 v[28:31], v103 offset:672
	s_waitcnt vmcnt(0) lgkmcnt(0)
	v_mul_f64 v[36:37], v[30:31], v[34:35]
	v_fma_f64 v[36:37], v[28:29], v[32:33], -v[36:37]
	v_mul_f64 v[28:29], v[28:29], v[34:35]
	v_fma_f64 v[38:39], v[30:31], v[32:33], v[28:29]
	global_load_dwordx4 v[32:35], v[24:25], off offset:1072
	ds_read_b128 v[28:31], v103 offset:1072
	ds_write_b128 v103, v[36:39] offset:672
	s_waitcnt vmcnt(0) lgkmcnt(1)
	v_mul_f64 v[36:37], v[30:31], v[34:35]
	v_fma_f64 v[36:37], v[28:29], v[32:33], -v[36:37]
	v_mul_f64 v[28:29], v[28:29], v[34:35]
	v_fma_f64 v[38:39], v[30:31], v[32:33], v[28:29]
	global_load_dwordx4 v[32:35], v[24:25], off offset:1472
	ds_read_b128 v[28:31], v103 offset:1472
	ds_write_b128 v103, v[36:39] offset:1072
	;; [unrolled: 8-line block ×13, first 2 shown]
	s_waitcnt vmcnt(0) lgkmcnt(1)
	v_mul_f64 v[24:25], v[30:31], v[34:35]
	v_fma_f64 v[36:37], v[28:29], v[32:33], -v[24:25]
	v_mul_f64 v[24:25], v[28:29], v[34:35]
	v_fma_f64 v[38:39], v[30:31], v[32:33], v[24:25]
	v_mov_b32_e32 v24, 0x1880
	v_lshl_or_b32 v24, v198, 4, v24
	global_load_dwordx4 v[32:35], v24, s[4:5]
	ds_read_b128 v[28:31], v103 offset:6272
	ds_write_b128 v103, v[36:39] offset:5872
	s_waitcnt vmcnt(0) lgkmcnt(1)
	v_mul_f64 v[24:25], v[30:31], v[34:35]
	v_fma_f64 v[36:37], v[28:29], v[32:33], -v[24:25]
	v_mul_f64 v[24:25], v[28:29], v[34:35]
	v_fma_f64 v[38:39], v[30:31], v[32:33], v[24:25]
	global_load_dwordx4 v[24:27], v[26:27], off offset:2576
	ds_read_b128 v[28:31], v103 offset:6672
	ds_write_b128 v103, v[36:39] offset:6272
	s_waitcnt vmcnt(0) lgkmcnt(1)
	v_mul_f64 v[32:33], v[30:31], v[26:27]
	v_mul_f64 v[26:27], v[28:29], v[26:27]
	v_fma_f64 v[32:33], v[28:29], v[24:25], -v[32:33]
	v_fma_f64 v[34:35], v[30:31], v[24:25], v[26:27]
	ds_write_b128 v103, v[32:35] offset:6672
.LBB0_9:
	s_or_b64 exec, exec, s[0:1]
	s_waitcnt lgkmcnt(0)
	; wave barrier
	s_waitcnt lgkmcnt(0)
	ds_read_b128 v[84:87], v103
	ds_read_b128 v[88:91], v103 offset:400
	ds_read_b128 v[76:79], v103 offset:800
	;; [unrolled: 1-line block ×16, first 2 shown]
	s_and_saveexec_b64 s[0:1], vcc
	s_cbranch_execz .LBB0_11
; %bb.10:
	ds_read_b128 v[248:251], v150 offset:272
	ds_read_b128 v[4:7], v150 offset:672
	;; [unrolled: 1-line block ×7, first 2 shown]
	s_waitcnt lgkmcnt(0)
	buffer_store_dword v16, off, s[60:63], 0 offset:676 ; 4-byte Folded Spill
	s_nop 0
	buffer_store_dword v17, off, s[60:63], 0 offset:680 ; 4-byte Folded Spill
	buffer_store_dword v18, off, s[60:63], 0 offset:684 ; 4-byte Folded Spill
	;; [unrolled: 1-line block ×3, first 2 shown]
	ds_read_b128 v[16:19], v150 offset:3072
	ds_read_b128 v[226:229], v150 offset:3472
	;; [unrolled: 1-line block ×4, first 2 shown]
	s_waitcnt lgkmcnt(0)
	buffer_store_dword v32, off, s[60:63], 0 offset:96 ; 4-byte Folded Spill
	s_nop 0
	buffer_store_dword v33, off, s[60:63], 0 offset:100 ; 4-byte Folded Spill
	buffer_store_dword v34, off, s[60:63], 0 offset:104 ; 4-byte Folded Spill
	buffer_store_dword v35, off, s[60:63], 0 offset:108 ; 4-byte Folded Spill
	ds_read_b128 v[32:35], v150 offset:4672
	s_waitcnt lgkmcnt(0)
	buffer_store_dword v32, off, s[60:63], 0 offset:80 ; 4-byte Folded Spill
	s_nop 0
	buffer_store_dword v33, off, s[60:63], 0 offset:84 ; 4-byte Folded Spill
	buffer_store_dword v34, off, s[60:63], 0 offset:88 ; 4-byte Folded Spill
	buffer_store_dword v35, off, s[60:63], 0 offset:92 ; 4-byte Folded Spill
	ds_read_b128 v[32:35], v150 offset:5072
	;; [unrolled: 7-line block ×6, first 2 shown]
	s_waitcnt lgkmcnt(0)
	buffer_store_dword v32, off, s[60:63], 0 ; 4-byte Folded Spill
	s_nop 0
	buffer_store_dword v33, off, s[60:63], 0 offset:4 ; 4-byte Folded Spill
	buffer_store_dword v34, off, s[60:63], 0 offset:8 ; 4-byte Folded Spill
	;; [unrolled: 1-line block ×3, first 2 shown]
.LBB0_11:
	s_or_b64 exec, exec, s[0:1]
	s_waitcnt lgkmcnt(14)
	v_add_f64 v[32:33], v[84:85], v[88:89]
	v_add_f64 v[34:35], v[86:87], v[90:91]
	s_waitcnt lgkmcnt(0)
	v_add_f64 v[155:156], v[90:91], -v[94:95]
	s_mov_b32 s2, 0x5d8e7cdc
	s_mov_b32 s4, 0x2a9d6da3
	;; [unrolled: 1-line block ×5, first 2 shown]
	v_add_f64 v[32:33], v[32:33], v[76:77]
	v_add_f64 v[34:35], v[34:35], v[78:79]
	s_mov_b32 s42, 0x4363dd80
	s_mov_b32 s48, 0xacd6c6b4
	;; [unrolled: 1-line block ×6, first 2 shown]
	v_add_f64 v[32:33], v[32:33], v[68:69]
	v_add_f64 v[34:35], v[34:35], v[70:71]
	s_mov_b32 s27, 0xbfeec746
	s_mov_b32 s43, 0xbfe0d888
	s_mov_b32 s49, 0xbfc7851a
	v_add_f64 v[146:147], v[88:89], v[92:93]
	v_add_f64 v[151:152], v[90:91], v[94:95]
	v_mul_f64 v[90:91], v[155:156], s[2:3]
	v_add_f64 v[32:33], v[32:33], v[60:61]
	v_add_f64 v[34:35], v[34:35], v[62:63]
	v_mul_f64 v[101:102], v[155:156], s[4:5]
	v_mul_f64 v[124:125], v[155:156], s[18:19]
	v_mul_f64 v[134:135], v[155:156], s[22:23]
	v_mul_f64 v[140:141], v[155:156], s[26:27]
	v_mul_f64 v[158:159], v[155:156], s[28:29]
	v_mul_f64 v[162:163], v[155:156], s[42:43]
	v_add_f64 v[32:33], v[32:33], v[52:53]
	v_add_f64 v[34:35], v[34:35], v[54:55]
	v_mul_f64 v[155:156], v[155:156], s[48:49]
	s_mov_b32 s0, 0x370991
	s_mov_b32 s12, 0x75d4884
	s_mov_b32 s16, 0x2b2883cd
	s_mov_b32 s20, 0x3259b75e
	s_mov_b32 s24, 0xc61f0d01
	v_add_f64 v[32:33], v[32:33], v[44:45]
	v_add_f64 v[34:35], v[34:35], v[46:47]
	s_mov_b32 s34, 0x6ed5f1bb
	s_mov_b32 s38, 0x910ea3b9
	;; [unrolled: 1-line block ×6, first 2 shown]
	v_add_f64 v[32:33], v[32:33], v[36:37]
	v_add_f64 v[34:35], v[34:35], v[38:39]
	s_mov_b32 s21, 0x3fb79ee6
	s_mov_b32 s25, 0xbfd183b1
	;; [unrolled: 1-line block ×5, first 2 shown]
	v_add_f64 v[153:154], v[88:89], -v[92:93]
	v_add_f64 v[32:33], v[32:33], v[24:25]
	v_add_f64 v[34:35], v[34:35], v[26:27]
	v_fma_f64 v[88:89], v[146:147], s[0:1], v[90:91]
	v_fma_f64 v[90:91], v[146:147], s[0:1], -v[90:91]
	v_fma_f64 v[96:97], v[146:147], s[12:13], v[101:102]
	v_mul_f64 v[120:121], v[151:152], s[12:13]
	v_fma_f64 v[101:102], v[146:147], s[12:13], -v[101:102]
	v_fma_f64 v[122:123], v[146:147], s[16:17], v[124:125]
	v_add_f64 v[32:33], v[32:33], v[28:29]
	v_add_f64 v[34:35], v[34:35], v[30:31]
	v_mul_f64 v[126:127], v[151:152], s[16:17]
	v_fma_f64 v[124:125], v[146:147], s[16:17], -v[124:125]
	v_fma_f64 v[130:131], v[146:147], s[20:21], v[134:135]
	v_mul_f64 v[136:137], v[151:152], s[20:21]
	v_fma_f64 v[134:135], v[146:147], s[20:21], -v[134:135]
	v_fma_f64 v[138:139], v[146:147], s[24:25], v[140:141]
	v_add_f64 v[32:33], v[32:33], v[40:41]
	v_add_f64 v[34:35], v[34:35], v[42:43]
	v_mul_f64 v[142:143], v[151:152], s[24:25]
	v_fma_f64 v[140:141], v[146:147], s[24:25], -v[140:141]
	v_fma_f64 v[164:165], v[146:147], s[38:39], v[162:163]
	v_mul_f64 v[166:167], v[151:152], s[38:39]
	v_fma_f64 v[162:163], v[146:147], s[38:39], -v[162:163]
	v_fma_f64 v[170:171], v[146:147], s[40:41], v[155:156]
	v_add_f64 v[32:33], v[32:33], v[48:49]
	v_add_f64 v[34:35], v[34:35], v[50:51]
	s_mov_b32 s31, 0x3fd71e95
	s_mov_b32 s30, s2
	;; [unrolled: 1-line block ×6, first 2 shown]
	v_add_f64 v[32:33], v[32:33], v[56:57]
	v_add_f64 v[34:35], v[34:35], v[58:59]
	s_mov_b32 s52, s22
	s_mov_b32 s45, 0x3feec746
	;; [unrolled: 1-line block ×6, first 2 shown]
	v_add_f64 v[32:33], v[32:33], v[64:65]
	v_add_f64 v[34:35], v[34:35], v[66:67]
	s_mov_b32 s55, 0x3fc7851a
	s_mov_b32 s54, s48
	v_add_f64 v[90:91], v[84:85], v[90:91]
	v_add_f64 v[96:97], v[84:85], v[96:97]
	v_fma_f64 v[99:100], v[153:154], s[46:47], v[120:121]
	v_add_f64 v[101:102], v[84:85], v[101:102]
	v_add_f64 v[32:33], v[32:33], v[72:73]
	;; [unrolled: 1-line block ×3, first 2 shown]
	v_fma_f64 v[120:121], v[153:154], s[4:5], v[120:121]
	v_add_f64 v[128:129], v[84:85], v[122:123]
	v_fma_f64 v[122:123], v[153:154], s[36:37], v[126:127]
	v_add_f64 v[124:125], v[84:85], v[124:125]
	;; [unrolled: 2-line block ×3, first 2 shown]
	v_add_f64 v[32:33], v[32:33], v[80:81]
	v_add_f64 v[34:35], v[34:35], v[82:83]
	v_fma_f64 v[132:133], v[153:154], s[52:53], v[136:137]
	v_add_f64 v[134:135], v[84:85], v[134:135]
	v_fma_f64 v[136:137], v[153:154], s[22:23], v[136:137]
	;; [unrolled: 2-line block ×3, first 2 shown]
	v_add_f64 v[140:141], v[84:85], v[140:141]
	v_add_f64 v[32:33], v[32:33], v[92:93]
	;; [unrolled: 1-line block ×3, first 2 shown]
	v_mul_f64 v[92:93], v[151:152], s[0:1]
	v_add_f64 v[94:95], v[84:85], v[88:89]
	v_fma_f64 v[142:143], v[153:154], s[26:27], v[142:143]
	v_add_f64 v[164:165], v[84:85], v[164:165]
	v_fma_f64 v[168:169], v[153:154], s[50:51], v[166:167]
	v_add_f64 v[162:163], v[84:85], v[162:163]
	buffer_store_dword v32, off, s[60:63], 0 offset:692 ; 4-byte Folded Spill
	s_nop 0
	buffer_store_dword v33, off, s[60:63], 0 offset:696 ; 4-byte Folded Spill
	buffer_store_dword v34, off, s[60:63], 0 offset:700 ; 4-byte Folded Spill
	;; [unrolled: 1-line block ×3, first 2 shown]
	v_fma_f64 v[32:33], v[146:147], s[34:35], v[158:159]
	v_mul_f64 v[34:35], v[151:152], s[34:35]
	v_fma_f64 v[158:159], v[146:147], s[34:35], -v[158:159]
	v_mul_f64 v[151:152], v[151:152], s[40:41]
	v_fma_f64 v[146:147], v[146:147], s[40:41], -v[155:156]
	v_fma_f64 v[88:89], v[153:154], s[30:31], v[92:93]
	v_fma_f64 v[92:93], v[153:154], s[2:3], v[92:93]
	;; [unrolled: 1-line block ×3, first 2 shown]
	v_add_f64 v[32:33], v[84:85], v[32:33]
	v_fma_f64 v[160:161], v[153:154], s[56:57], v[34:35]
	v_add_f64 v[158:159], v[84:85], v[158:159]
	v_fma_f64 v[34:35], v[153:154], s[28:29], v[34:35]
	;; [unrolled: 2-line block ×4, first 2 shown]
	v_add_f64 v[151:152], v[78:79], v[82:83]
	v_add_f64 v[78:79], v[78:79], -v[82:83]
	v_add_f64 v[88:89], v[86:87], v[88:89]
	v_add_f64 v[92:93], v[86:87], v[92:93]
	;; [unrolled: 1-line block ×17, first 2 shown]
	v_add_f64 v[76:77], v[76:77], -v[80:81]
	v_mul_f64 v[80:81], v[78:79], s[4:5]
	s_waitcnt lgkmcnt(0)
	; wave barrier
	v_add_u32_e32 v223, 0x220, v103
	v_add_u32_e32 v197, 0x330, v103
	;; [unrolled: 1-line block ×3, first 2 shown]
	v_fma_f64 v[82:83], v[146:147], s[12:13], v[80:81]
	v_fma_f64 v[80:81], v[146:147], s[12:13], -v[80:81]
	v_add_f64 v[82:83], v[82:83], v[94:95]
	v_mul_f64 v[94:95], v[151:152], s[12:13]
	v_add_f64 v[80:81], v[80:81], v[90:91]
	v_fma_f64 v[90:91], v[76:77], s[4:5], v[94:95]
	v_fma_f64 v[153:154], v[76:77], s[46:47], v[94:95]
	v_add_f64 v[90:91], v[90:91], v[92:93]
	v_mul_f64 v[92:93], v[78:79], s[22:23]
	v_add_f64 v[88:89], v[153:154], v[88:89]
	v_fma_f64 v[94:95], v[146:147], s[20:21], v[92:93]
	v_fma_f64 v[92:93], v[146:147], s[20:21], -v[92:93]
	v_add_f64 v[94:95], v[94:95], v[96:97]
	v_mul_f64 v[96:97], v[151:152], s[20:21]
	v_add_f64 v[92:93], v[92:93], v[101:102]
	v_mul_f64 v[101:102], v[78:79], s[28:29]
	v_fma_f64 v[153:154], v[76:77], s[52:53], v[96:97]
	v_fma_f64 v[96:97], v[76:77], s[22:23], v[96:97]
	v_add_f64 v[99:100], v[153:154], v[99:100]
	v_add_f64 v[96:97], v[96:97], v[120:121]
	v_fma_f64 v[120:121], v[146:147], s[34:35], v[101:102]
	v_fma_f64 v[101:102], v[146:147], s[34:35], -v[101:102]
	v_add_f64 v[120:121], v[120:121], v[128:129]
	v_mul_f64 v[128:129], v[151:152], s[34:35]
	v_add_f64 v[101:102], v[101:102], v[124:125]
	v_fma_f64 v[124:125], v[76:77], s[28:29], v[128:129]
	v_fma_f64 v[153:154], v[76:77], s[56:57], v[128:129]
	v_add_f64 v[124:125], v[124:125], v[126:127]
	v_mul_f64 v[126:127], v[78:79], s[48:49]
	v_add_f64 v[122:123], v[153:154], v[122:123]
	v_fma_f64 v[128:129], v[146:147], s[40:41], v[126:127]
	v_fma_f64 v[126:127], v[146:147], s[40:41], -v[126:127]
	v_add_f64 v[128:129], v[128:129], v[130:131]
	v_mul_f64 v[130:131], v[151:152], s[40:41]
	v_add_f64 v[126:127], v[126:127], v[134:135]
	v_mul_f64 v[134:135], v[78:79], s[50:51]
	v_fma_f64 v[153:154], v[76:77], s[54:55], v[130:131]
	v_fma_f64 v[130:131], v[76:77], s[48:49], v[130:131]
	v_add_f64 v[132:133], v[153:154], v[132:133]
	v_add_f64 v[130:131], v[130:131], v[136:137]
	v_fma_f64 v[136:137], v[146:147], s[38:39], v[134:135]
	v_fma_f64 v[134:135], v[146:147], s[38:39], -v[134:135]
	v_add_f64 v[136:137], v[136:137], v[144:145]
	v_mul_f64 v[144:145], v[151:152], s[38:39]
	v_add_f64 v[134:135], v[134:135], v[140:141]
	v_fma_f64 v[140:141], v[76:77], s[50:51], v[144:145]
	v_fma_f64 v[153:154], v[76:77], s[42:43], v[144:145]
	v_add_f64 v[140:141], v[140:141], v[142:143]
	v_mul_f64 v[142:143], v[78:79], s[44:45]
	v_add_f64 v[138:139], v[153:154], v[138:139]
	v_fma_f64 v[144:145], v[146:147], s[24:25], v[142:143]
	v_fma_f64 v[142:143], v[146:147], s[24:25], -v[142:143]
	v_add_f64 v[32:33], v[144:145], v[32:33]
	v_mul_f64 v[144:145], v[151:152], s[24:25]
	v_add_f64 v[142:143], v[142:143], v[158:159]
	v_mul_f64 v[158:159], v[151:152], s[16:17]
	v_mul_f64 v[151:152], v[151:152], s[0:1]
	v_fma_f64 v[153:154], v[76:77], s[26:27], v[144:145]
	v_fma_f64 v[144:145], v[76:77], s[44:45], v[144:145]
	v_add_f64 v[153:154], v[153:154], v[160:161]
	v_add_f64 v[34:35], v[144:145], v[34:35]
	v_mul_f64 v[144:145], v[78:79], s[36:37]
	v_fma_f64 v[160:161], v[76:77], s[18:19], v[158:159]
	v_fma_f64 v[158:159], v[76:77], s[36:37], v[158:159]
	v_mul_f64 v[78:79], v[78:79], s[30:31]
	v_fma_f64 v[155:156], v[146:147], s[16:17], v[144:145]
	v_fma_f64 v[144:145], v[146:147], s[16:17], -v[144:145]
	v_add_f64 v[158:159], v[158:159], v[166:167]
	v_add_f64 v[160:161], v[160:161], v[168:169]
	;; [unrolled: 1-line block ×3, first 2 shown]
	v_fma_f64 v[164:165], v[76:77], s[2:3], v[151:152]
	v_fma_f64 v[76:77], v[76:77], s[30:31], v[151:152]
	v_add_f64 v[144:145], v[144:145], v[162:163]
	v_fma_f64 v[162:163], v[146:147], s[0:1], v[78:79]
	v_fma_f64 v[78:79], v[146:147], s[0:1], -v[78:79]
	v_add_f64 v[164:165], v[164:165], v[172:173]
	v_add_f64 v[76:77], v[76:77], v[86:87]
	;; [unrolled: 1-line block ×3, first 2 shown]
	v_add_f64 v[70:71], v[70:71], -v[74:75]
	v_add_f64 v[78:79], v[78:79], v[84:85]
	v_add_f64 v[84:85], v[68:69], v[72:73]
	v_add_f64 v[68:69], v[68:69], -v[72:73]
	v_add_f64 v[162:163], v[162:163], v[170:171]
	v_mul_f64 v[151:152], v[86:87], s[20:21]
	v_mul_f64 v[72:73], v[70:71], s[18:19]
	v_fma_f64 v[74:75], v[84:85], s[16:17], v[72:73]
	v_fma_f64 v[72:73], v[84:85], s[16:17], -v[72:73]
	v_add_f64 v[74:75], v[74:75], v[82:83]
	v_mul_f64 v[82:83], v[86:87], s[16:17]
	v_add_f64 v[72:73], v[72:73], v[80:81]
	v_fma_f64 v[146:147], v[68:69], s[36:37], v[82:83]
	v_fma_f64 v[80:81], v[68:69], s[18:19], v[82:83]
	v_mul_f64 v[82:83], v[70:71], s[28:29]
	v_add_f64 v[88:89], v[146:147], v[88:89]
	v_add_f64 v[80:81], v[80:81], v[90:91]
	v_fma_f64 v[90:91], v[84:85], s[34:35], v[82:83]
	v_fma_f64 v[82:83], v[84:85], s[34:35], -v[82:83]
	v_add_f64 v[90:91], v[90:91], v[94:95]
	v_mul_f64 v[94:95], v[86:87], s[34:35]
	v_add_f64 v[82:83], v[82:83], v[92:93]
	v_fma_f64 v[146:147], v[68:69], s[56:57], v[94:95]
	v_fma_f64 v[92:93], v[68:69], s[28:29], v[94:95]
	v_mul_f64 v[94:95], v[70:71], s[54:55]
	v_add_f64 v[99:100], v[146:147], v[99:100]
	v_add_f64 v[92:93], v[92:93], v[96:97]
	v_fma_f64 v[96:97], v[84:85], s[40:41], v[94:95]
	v_fma_f64 v[94:95], v[84:85], s[40:41], -v[94:95]
	v_add_f64 v[96:97], v[96:97], v[120:121]
	v_mul_f64 v[120:121], v[86:87], s[40:41]
	v_add_f64 v[94:95], v[94:95], v[101:102]
	v_fma_f64 v[146:147], v[68:69], s[48:49], v[120:121]
	v_fma_f64 v[101:102], v[68:69], s[54:55], v[120:121]
	v_mul_f64 v[120:121], v[70:71], s[44:45]
	v_add_f64 v[122:123], v[146:147], v[122:123]
	v_add_f64 v[101:102], v[101:102], v[124:125]
	v_fma_f64 v[124:125], v[84:85], s[24:25], v[120:121]
	v_fma_f64 v[120:121], v[84:85], s[24:25], -v[120:121]
	v_add_f64 v[124:125], v[124:125], v[128:129]
	v_mul_f64 v[128:129], v[86:87], s[24:25]
	v_add_f64 v[120:121], v[120:121], v[126:127]
	v_fma_f64 v[146:147], v[68:69], s[26:27], v[128:129]
	v_fma_f64 v[126:127], v[68:69], s[44:45], v[128:129]
	v_mul_f64 v[128:129], v[70:71], s[46:47]
	v_add_f64 v[132:133], v[146:147], v[132:133]
	v_add_f64 v[126:127], v[126:127], v[130:131]
	v_fma_f64 v[130:131], v[84:85], s[12:13], v[128:129]
	v_fma_f64 v[128:129], v[84:85], s[12:13], -v[128:129]
	v_add_f64 v[130:131], v[130:131], v[136:137]
	v_mul_f64 v[136:137], v[86:87], s[12:13]
	v_add_f64 v[128:129], v[128:129], v[134:135]
	v_fma_f64 v[146:147], v[68:69], s[4:5], v[136:137]
	v_fma_f64 v[134:135], v[68:69], s[46:47], v[136:137]
	v_mul_f64 v[136:137], v[70:71], s[2:3]
	v_add_f64 v[138:139], v[146:147], v[138:139]
	v_add_f64 v[134:135], v[134:135], v[140:141]
	v_fma_f64 v[140:141], v[84:85], s[0:1], v[136:137]
	v_fma_f64 v[136:137], v[84:85], s[0:1], -v[136:137]
	v_add_f64 v[32:33], v[140:141], v[32:33]
	v_mul_f64 v[140:141], v[86:87], s[0:1]
	v_add_f64 v[136:137], v[136:137], v[142:143]
	v_mul_f64 v[86:87], v[86:87], s[38:39]
	v_fma_f64 v[146:147], v[68:69], s[30:31], v[140:141]
	v_fma_f64 v[140:141], v[68:69], s[2:3], v[140:141]
	v_add_f64 v[146:147], v[146:147], v[153:154]
	v_add_f64 v[34:35], v[140:141], v[34:35]
	v_mul_f64 v[140:141], v[70:71], s[22:23]
	v_mul_f64 v[70:71], v[70:71], s[42:43]
	v_fma_f64 v[153:154], v[68:69], s[52:53], v[151:152]
	v_fma_f64 v[142:143], v[84:85], s[20:21], v[140:141]
	v_fma_f64 v[140:141], v[84:85], s[20:21], -v[140:141]
	v_add_f64 v[153:154], v[153:154], v[160:161]
	v_add_f64 v[142:143], v[142:143], v[155:156]
	;; [unrolled: 1-line block ×3, first 2 shown]
	v_fma_f64 v[144:145], v[68:69], s[22:23], v[151:152]
	v_fma_f64 v[151:152], v[84:85], s[38:39], v[70:71]
	v_fma_f64 v[70:71], v[84:85], s[38:39], -v[70:71]
	v_fma_f64 v[155:156], v[68:69], s[50:51], v[86:87]
	v_fma_f64 v[68:69], v[68:69], s[42:43], v[86:87]
	v_add_f64 v[144:145], v[144:145], v[158:159]
	v_add_f64 v[151:152], v[151:152], v[162:163]
	;; [unrolled: 1-line block ×4, first 2 shown]
	v_add_f64 v[62:63], v[62:63], -v[66:67]
	v_add_f64 v[68:69], v[68:69], v[76:77]
	v_add_f64 v[76:77], v[60:61], v[64:65]
	v_add_f64 v[60:61], v[60:61], -v[64:65]
	v_add_f64 v[155:156], v[155:156], v[164:165]
	v_mul_f64 v[86:87], v[78:79], s[40:41]
	v_mul_f64 v[64:65], v[62:63], s[22:23]
	v_fma_f64 v[66:67], v[76:77], s[20:21], v[64:65]
	v_fma_f64 v[64:65], v[76:77], s[20:21], -v[64:65]
	v_add_f64 v[66:67], v[66:67], v[74:75]
	v_mul_f64 v[74:75], v[78:79], s[20:21]
	v_add_f64 v[64:65], v[64:65], v[72:73]
	v_fma_f64 v[84:85], v[60:61], s[52:53], v[74:75]
	v_fma_f64 v[72:73], v[60:61], s[22:23], v[74:75]
	v_mul_f64 v[74:75], v[62:63], s[48:49]
	v_add_f64 v[84:85], v[84:85], v[88:89]
	v_add_f64 v[72:73], v[72:73], v[80:81]
	v_fma_f64 v[80:81], v[76:77], s[40:41], v[74:75]
	v_fma_f64 v[74:75], v[76:77], s[40:41], -v[74:75]
	v_fma_f64 v[88:89], v[60:61], s[54:55], v[86:87]
	v_add_f64 v[80:81], v[80:81], v[90:91]
	v_add_f64 v[74:75], v[74:75], v[82:83]
	v_fma_f64 v[82:83], v[60:61], s[48:49], v[86:87]
	v_mul_f64 v[86:87], v[62:63], s[44:45]
	v_add_f64 v[88:89], v[88:89], v[99:100]
	v_add_f64 v[82:83], v[82:83], v[92:93]
	v_fma_f64 v[90:91], v[76:77], s[24:25], v[86:87]
	v_fma_f64 v[86:87], v[76:77], s[24:25], -v[86:87]
	v_mul_f64 v[92:93], v[78:79], s[24:25]
	v_add_f64 v[90:91], v[90:91], v[96:97]
	v_add_f64 v[86:87], v[86:87], v[94:95]
	v_mul_f64 v[94:95], v[62:63], s[30:31]
	v_fma_f64 v[96:97], v[60:61], s[26:27], v[92:93]
	v_fma_f64 v[92:93], v[60:61], s[44:45], v[92:93]
	;; [unrolled: 1-line block ×3, first 2 shown]
	v_fma_f64 v[94:95], v[76:77], s[0:1], -v[94:95]
	v_add_f64 v[92:93], v[92:93], v[101:102]
	v_mul_f64 v[101:102], v[78:79], s[0:1]
	v_add_f64 v[96:97], v[96:97], v[122:123]
	v_add_f64 v[99:100], v[99:100], v[124:125]
	;; [unrolled: 1-line block ×3, first 2 shown]
	v_mul_f64 v[120:121], v[62:63], s[18:19]
	v_fma_f64 v[122:123], v[60:61], s[2:3], v[101:102]
	v_fma_f64 v[101:102], v[60:61], s[30:31], v[101:102]
	;; [unrolled: 1-line block ×3, first 2 shown]
	v_fma_f64 v[120:121], v[76:77], s[16:17], -v[120:121]
	v_add_f64 v[122:123], v[122:123], v[132:133]
	v_add_f64 v[101:102], v[101:102], v[126:127]
	v_mul_f64 v[126:127], v[78:79], s[16:17]
	v_add_f64 v[124:125], v[124:125], v[130:131]
	v_add_f64 v[120:121], v[120:121], v[128:129]
	v_mul_f64 v[128:129], v[62:63], s[42:43]
	v_fma_f64 v[130:131], v[60:61], s[36:37], v[126:127]
	v_fma_f64 v[126:127], v[60:61], s[18:19], v[126:127]
	v_fma_f64 v[132:133], v[76:77], s[38:39], v[128:129]
	v_fma_f64 v[128:129], v[76:77], s[38:39], -v[128:129]
	v_add_f64 v[130:131], v[130:131], v[138:139]
	v_add_f64 v[126:127], v[126:127], v[134:135]
	v_mul_f64 v[138:139], v[78:79], s[34:35]
	v_add_f64 v[32:33], v[132:133], v[32:33]
	v_mul_f64 v[132:133], v[78:79], s[38:39]
	;; [unrolled: 2-line block ×3, first 2 shown]
	v_fma_f64 v[134:135], v[60:61], s[50:51], v[132:133]
	v_fma_f64 v[132:133], v[60:61], s[42:43], v[132:133]
	v_add_f64 v[134:135], v[134:135], v[146:147]
	v_add_f64 v[34:35], v[132:133], v[34:35]
	v_mul_f64 v[132:133], v[62:63], s[56:57]
	v_mul_f64 v[62:63], v[62:63], s[46:47]
	v_fma_f64 v[136:137], v[76:77], s[34:35], v[132:133]
	v_fma_f64 v[132:133], v[76:77], s[34:35], -v[132:133]
	v_add_f64 v[136:137], v[136:137], v[142:143]
	v_fma_f64 v[142:143], v[60:61], s[28:29], v[138:139]
	v_add_f64 v[132:133], v[132:133], v[140:141]
	v_fma_f64 v[138:139], v[60:61], s[56:57], v[138:139]
	v_fma_f64 v[140:141], v[76:77], s[12:13], v[62:63]
	v_fma_f64 v[62:63], v[76:77], s[12:13], -v[62:63]
	v_add_f64 v[142:143], v[142:143], v[153:154]
	v_add_f64 v[138:139], v[138:139], v[144:145]
	v_fma_f64 v[144:145], v[60:61], s[4:5], v[78:79]
	v_add_f64 v[62:63], v[62:63], v[70:71]
	v_fma_f64 v[60:61], v[60:61], s[46:47], v[78:79]
	v_add_f64 v[70:71], v[54:55], v[58:59]
	v_add_f64 v[54:55], v[54:55], -v[58:59]
	v_add_f64 v[140:141], v[140:141], v[151:152]
	v_add_f64 v[144:145], v[144:145], v[155:156]
	;; [unrolled: 1-line block ×4, first 2 shown]
	v_add_f64 v[52:53], v[52:53], -v[56:57]
	v_mul_f64 v[56:57], v[54:55], s[26:27]
	v_mul_f64 v[78:79], v[70:71], s[38:39]
	v_fma_f64 v[58:59], v[68:69], s[24:25], v[56:57]
	v_fma_f64 v[56:57], v[68:69], s[24:25], -v[56:57]
	v_add_f64 v[58:59], v[58:59], v[66:67]
	v_mul_f64 v[66:67], v[70:71], s[24:25]
	v_add_f64 v[56:57], v[56:57], v[64:65]
	v_fma_f64 v[76:77], v[52:53], s[44:45], v[66:67]
	v_fma_f64 v[64:65], v[52:53], s[26:27], v[66:67]
	v_mul_f64 v[66:67], v[54:55], s[50:51]
	v_add_f64 v[76:77], v[76:77], v[84:85]
	v_add_f64 v[64:65], v[64:65], v[72:73]
	v_fma_f64 v[72:73], v[68:69], s[38:39], v[66:67]
	v_fma_f64 v[66:67], v[68:69], s[38:39], -v[66:67]
	v_mul_f64 v[84:85], v[70:71], s[12:13]
	v_add_f64 v[72:73], v[72:73], v[80:81]
	v_fma_f64 v[80:81], v[52:53], s[42:43], v[78:79]
	v_add_f64 v[66:67], v[66:67], v[74:75]
	v_fma_f64 v[74:75], v[52:53], s[50:51], v[78:79]
	v_mul_f64 v[78:79], v[54:55], s[46:47]
	v_add_f64 v[80:81], v[80:81], v[88:89]
	v_fma_f64 v[88:89], v[52:53], s[4:5], v[84:85]
	v_add_f64 v[74:75], v[74:75], v[82:83]
	v_fma_f64 v[82:83], v[68:69], s[12:13], v[78:79]
	v_fma_f64 v[78:79], v[68:69], s[12:13], -v[78:79]
	v_fma_f64 v[84:85], v[52:53], s[46:47], v[84:85]
	v_add_f64 v[88:89], v[88:89], v[96:97]
	v_add_f64 v[82:83], v[82:83], v[90:91]
	v_add_f64 v[78:79], v[78:79], v[86:87]
	v_mul_f64 v[86:87], v[54:55], s[18:19]
	v_add_f64 v[84:85], v[84:85], v[92:93]
	v_mul_f64 v[92:93], v[70:71], s[16:17]
	v_fma_f64 v[90:91], v[68:69], s[16:17], v[86:87]
	v_fma_f64 v[86:87], v[68:69], s[16:17], -v[86:87]
	v_fma_f64 v[96:97], v[52:53], s[36:37], v[92:93]
	v_fma_f64 v[92:93], v[52:53], s[18:19], v[92:93]
	v_add_f64 v[90:91], v[90:91], v[99:100]
	v_add_f64 v[86:87], v[86:87], v[94:95]
	v_mul_f64 v[94:95], v[54:55], s[48:49]
	v_add_f64 v[92:93], v[92:93], v[101:102]
	v_mul_f64 v[101:102], v[70:71], s[40:41]
	v_add_f64 v[96:97], v[96:97], v[122:123]
	v_fma_f64 v[99:100], v[68:69], s[40:41], v[94:95]
	v_fma_f64 v[94:95], v[68:69], s[40:41], -v[94:95]
	v_fma_f64 v[122:123], v[52:53], s[54:55], v[101:102]
	v_fma_f64 v[101:102], v[52:53], s[48:49], v[101:102]
	v_add_f64 v[99:100], v[99:100], v[124:125]
	v_add_f64 v[94:95], v[94:95], v[120:121]
	v_mul_f64 v[120:121], v[54:55], s[52:53]
	v_add_f64 v[101:102], v[101:102], v[126:127]
	v_add_f64 v[122:123], v[122:123], v[130:131]
	v_mul_f64 v[130:131], v[70:71], s[0:1]
	v_fma_f64 v[124:125], v[68:69], s[20:21], v[120:121]
	v_fma_f64 v[120:121], v[68:69], s[20:21], -v[120:121]
	v_add_f64 v[32:33], v[124:125], v[32:33]
	v_mul_f64 v[124:125], v[70:71], s[20:21]
	v_add_f64 v[120:121], v[120:121], v[128:129]
	v_mul_f64 v[70:71], v[70:71], s[34:35]
	v_fma_f64 v[126:127], v[52:53], s[22:23], v[124:125]
	v_fma_f64 v[124:125], v[52:53], s[52:53], v[124:125]
	v_add_f64 v[126:127], v[126:127], v[134:135]
	v_add_f64 v[34:35], v[124:125], v[34:35]
	v_mul_f64 v[124:125], v[54:55], s[2:3]
	v_mul_f64 v[54:55], v[54:55], s[28:29]
	v_fma_f64 v[134:135], v[52:53], s[30:31], v[130:131]
	v_fma_f64 v[130:131], v[52:53], s[2:3], v[130:131]
	;; [unrolled: 1-line block ×3, first 2 shown]
	v_fma_f64 v[124:125], v[68:69], s[0:1], -v[124:125]
	v_add_f64 v[134:135], v[134:135], v[142:143]
	v_add_f64 v[130:131], v[130:131], v[138:139]
	;; [unrolled: 1-line block ×4, first 2 shown]
	v_fma_f64 v[132:133], v[68:69], s[34:35], v[54:55]
	v_fma_f64 v[54:55], v[68:69], s[34:35], -v[54:55]
	v_fma_f64 v[136:137], v[52:53], s[56:57], v[70:71]
	v_fma_f64 v[52:53], v[52:53], s[28:29], v[70:71]
	v_add_f64 v[132:133], v[132:133], v[140:141]
	v_add_f64 v[54:55], v[54:55], v[62:63]
	;; [unrolled: 1-line block ×3, first 2 shown]
	v_add_f64 v[46:47], v[46:47], -v[50:51]
	v_add_f64 v[52:53], v[52:53], v[60:61]
	v_add_f64 v[60:61], v[44:45], v[48:49]
	v_add_f64 v[44:45], v[44:45], -v[48:49]
	v_add_f64 v[136:137], v[136:137], v[144:145]
	v_mul_f64 v[70:71], v[62:63], s[24:25]
	v_mul_f64 v[48:49], v[46:47], s[28:29]
	v_fma_f64 v[50:51], v[60:61], s[34:35], v[48:49]
	v_fma_f64 v[48:49], v[60:61], s[34:35], -v[48:49]
	v_add_f64 v[50:51], v[50:51], v[58:59]
	v_mul_f64 v[58:59], v[62:63], s[34:35]
	v_add_f64 v[48:49], v[48:49], v[56:57]
	v_fma_f64 v[68:69], v[44:45], s[56:57], v[58:59]
	v_fma_f64 v[56:57], v[44:45], s[28:29], v[58:59]
	v_mul_f64 v[58:59], v[46:47], s[44:45]
	v_add_f64 v[68:69], v[68:69], v[76:77]
	v_add_f64 v[56:57], v[56:57], v[64:65]
	v_fma_f64 v[64:65], v[60:61], s[24:25], v[58:59]
	v_fma_f64 v[58:59], v[60:61], s[24:25], -v[58:59]
	v_mul_f64 v[76:77], v[62:63], s[0:1]
	v_add_f64 v[64:65], v[64:65], v[72:73]
	v_fma_f64 v[72:73], v[44:45], s[26:27], v[70:71]
	v_add_f64 v[58:59], v[58:59], v[66:67]
	v_fma_f64 v[66:67], v[44:45], s[44:45], v[70:71]
	v_mul_f64 v[70:71], v[46:47], s[2:3]
	v_add_f64 v[72:73], v[72:73], v[80:81]
	v_fma_f64 v[80:81], v[44:45], s[30:31], v[76:77]
	v_add_f64 v[66:67], v[66:67], v[74:75]
	v_fma_f64 v[74:75], v[60:61], s[0:1], v[70:71]
	v_fma_f64 v[70:71], v[60:61], s[0:1], -v[70:71]
	v_fma_f64 v[76:77], v[44:45], s[2:3], v[76:77]
	v_add_f64 v[80:81], v[80:81], v[88:89]
	v_add_f64 v[74:75], v[74:75], v[82:83]
	;; [unrolled: 1-line block ×3, first 2 shown]
	v_mul_f64 v[78:79], v[46:47], s[42:43]
	v_add_f64 v[76:77], v[76:77], v[84:85]
	v_mul_f64 v[84:85], v[62:63], s[38:39]
	v_fma_f64 v[82:83], v[60:61], s[38:39], v[78:79]
	v_fma_f64 v[78:79], v[60:61], s[38:39], -v[78:79]
	v_fma_f64 v[88:89], v[44:45], s[50:51], v[84:85]
	v_fma_f64 v[84:85], v[44:45], s[42:43], v[84:85]
	v_add_f64 v[82:83], v[82:83], v[90:91]
	v_add_f64 v[78:79], v[78:79], v[86:87]
	v_mul_f64 v[86:87], v[46:47], s[52:53]
	v_add_f64 v[84:85], v[84:85], v[92:93]
	v_mul_f64 v[92:93], v[62:63], s[20:21]
	v_add_f64 v[88:89], v[88:89], v[96:97]
	v_fma_f64 v[90:91], v[60:61], s[20:21], v[86:87]
	v_fma_f64 v[86:87], v[60:61], s[20:21], -v[86:87]
	v_fma_f64 v[96:97], v[44:45], s[22:23], v[92:93]
	v_fma_f64 v[92:93], v[44:45], s[52:53], v[92:93]
	v_add_f64 v[90:91], v[90:91], v[99:100]
	v_add_f64 v[86:87], v[86:87], v[94:95]
	v_mul_f64 v[94:95], v[46:47], s[4:5]
	v_add_f64 v[92:93], v[92:93], v[101:102]
	v_add_f64 v[96:97], v[96:97], v[122:123]
	v_mul_f64 v[122:123], v[62:63], s[40:41]
	v_fma_f64 v[99:100], v[60:61], s[12:13], v[94:95]
	v_fma_f64 v[94:95], v[60:61], s[12:13], -v[94:95]
	v_add_f64 v[32:33], v[99:100], v[32:33]
	v_mul_f64 v[99:100], v[62:63], s[12:13]
	v_add_f64 v[94:95], v[94:95], v[120:121]
	v_mul_f64 v[62:63], v[62:63], s[16:17]
	v_fma_f64 v[101:102], v[44:45], s[46:47], v[99:100]
	v_fma_f64 v[99:100], v[44:45], s[4:5], v[99:100]
	v_add_f64 v[101:102], v[101:102], v[126:127]
	v_add_f64 v[34:35], v[99:100], v[34:35]
	v_mul_f64 v[99:100], v[46:47], s[48:49]
	v_mul_f64 v[46:47], v[46:47], s[36:37]
	v_fma_f64 v[126:127], v[44:45], s[54:55], v[122:123]
	v_fma_f64 v[122:123], v[44:45], s[48:49], v[122:123]
	;; [unrolled: 1-line block ×3, first 2 shown]
	v_fma_f64 v[99:100], v[60:61], s[40:41], -v[99:100]
	v_add_f64 v[126:127], v[126:127], v[134:135]
	v_add_f64 v[122:123], v[122:123], v[130:131]
	v_add_f64 v[130:131], v[24:25], -v[28:29]
	v_add_f64 v[120:121], v[120:121], v[128:129]
	v_add_f64 v[99:100], v[99:100], v[124:125]
	v_fma_f64 v[124:125], v[60:61], s[16:17], v[46:47]
	v_fma_f64 v[46:47], v[60:61], s[16:17], -v[46:47]
	v_fma_f64 v[128:129], v[44:45], s[18:19], v[62:63]
	v_fma_f64 v[44:45], v[44:45], s[36:37], v[62:63]
	v_add_f64 v[124:125], v[124:125], v[132:133]
	v_add_f64 v[46:47], v[46:47], v[54:55]
	;; [unrolled: 1-line block ×3, first 2 shown]
	v_add_f64 v[38:39], v[38:39], -v[42:43]
	v_add_f64 v[44:45], v[44:45], v[52:53]
	v_add_f64 v[52:53], v[36:37], v[40:41]
	v_add_f64 v[36:37], v[36:37], -v[40:41]
	v_add_f64 v[132:133], v[26:27], -v[30:31]
	v_add_f64 v[128:129], v[128:129], v[136:137]
	v_mul_f64 v[62:63], v[54:55], s[16:17]
	v_mul_f64 v[40:41], v[38:39], s[42:43]
	v_fma_f64 v[42:43], v[52:53], s[38:39], v[40:41]
	v_fma_f64 v[40:41], v[52:53], s[38:39], -v[40:41]
	v_add_f64 v[42:43], v[42:43], v[50:51]
	v_mul_f64 v[50:51], v[54:55], s[38:39]
	v_add_f64 v[40:41], v[40:41], v[48:49]
	v_fma_f64 v[60:61], v[36:37], s[50:51], v[50:51]
	v_fma_f64 v[48:49], v[36:37], s[42:43], v[50:51]
	v_mul_f64 v[50:51], v[38:39], s[36:37]
	v_add_f64 v[60:61], v[60:61], v[68:69]
	v_add_f64 v[48:49], v[48:49], v[56:57]
	v_fma_f64 v[56:57], v[52:53], s[16:17], v[50:51]
	v_fma_f64 v[50:51], v[52:53], s[16:17], -v[50:51]
	v_mul_f64 v[68:69], v[54:55], s[20:21]
	v_add_f64 v[56:57], v[56:57], v[64:65]
	v_fma_f64 v[64:65], v[36:37], s[18:19], v[62:63]
	v_add_f64 v[50:51], v[50:51], v[58:59]
	v_fma_f64 v[58:59], v[36:37], s[36:37], v[62:63]
	v_mul_f64 v[62:63], v[38:39], s[22:23]
	v_add_f64 v[64:65], v[64:65], v[72:73]
	v_fma_f64 v[72:73], v[36:37], s[52:53], v[68:69]
	v_add_f64 v[58:59], v[58:59], v[66:67]
	v_fma_f64 v[66:67], v[52:53], s[20:21], v[62:63]
	v_fma_f64 v[62:63], v[52:53], s[20:21], -v[62:63]
	v_fma_f64 v[68:69], v[36:37], s[22:23], v[68:69]
	v_add_f64 v[72:73], v[72:73], v[80:81]
	v_add_f64 v[66:67], v[66:67], v[74:75]
	;; [unrolled: 1-line block ×3, first 2 shown]
	v_mul_f64 v[70:71], v[38:39], s[56:57]
	v_add_f64 v[68:69], v[68:69], v[76:77]
	v_mul_f64 v[76:77], v[54:55], s[34:35]
	v_fma_f64 v[74:75], v[52:53], s[34:35], v[70:71]
	v_fma_f64 v[70:71], v[52:53], s[34:35], -v[70:71]
	v_fma_f64 v[80:81], v[36:37], s[28:29], v[76:77]
	v_fma_f64 v[76:77], v[36:37], s[56:57], v[76:77]
	v_add_f64 v[74:75], v[74:75], v[82:83]
	v_add_f64 v[70:71], v[70:71], v[78:79]
	v_mul_f64 v[78:79], v[38:39], s[2:3]
	v_add_f64 v[76:77], v[76:77], v[84:85]
	v_mul_f64 v[84:85], v[54:55], s[0:1]
	v_add_f64 v[80:81], v[80:81], v[88:89]
	v_fma_f64 v[82:83], v[52:53], s[0:1], v[78:79]
	v_fma_f64 v[78:79], v[52:53], s[0:1], -v[78:79]
	v_fma_f64 v[88:89], v[36:37], s[30:31], v[84:85]
	v_fma_f64 v[84:85], v[36:37], s[2:3], v[84:85]
	v_add_f64 v[82:83], v[82:83], v[90:91]
	v_add_f64 v[78:79], v[78:79], v[86:87]
	v_mul_f64 v[86:87], v[38:39], s[48:49]
	v_add_f64 v[88:89], v[88:89], v[96:97]
	v_add_f64 v[84:85], v[84:85], v[92:93]
	v_mul_f64 v[96:97], v[54:55], s[12:13]
	v_fma_f64 v[90:91], v[52:53], s[40:41], v[86:87]
	v_fma_f64 v[86:87], v[52:53], s[40:41], -v[86:87]
	v_add_f64 v[32:33], v[90:91], v[32:33]
	v_mul_f64 v[90:91], v[54:55], s[40:41]
	v_add_f64 v[86:87], v[86:87], v[94:95]
	v_mul_f64 v[54:55], v[54:55], s[24:25]
	v_fma_f64 v[92:93], v[36:37], s[54:55], v[90:91]
	v_fma_f64 v[90:91], v[36:37], s[48:49], v[90:91]
	v_add_f64 v[92:93], v[92:93], v[101:102]
	v_fma_f64 v[101:102], v[36:37], s[4:5], v[96:97]
	v_add_f64 v[34:35], v[90:91], v[34:35]
	v_mul_f64 v[90:91], v[38:39], s[46:47]
	v_mul_f64 v[38:39], v[38:39], s[26:27]
	v_fma_f64 v[96:97], v[36:37], s[46:47], v[96:97]
	v_add_f64 v[101:102], v[101:102], v[126:127]
	v_add_f64 v[126:127], v[24:25], v[28:29]
	v_mul_f64 v[28:29], v[132:133], s[48:49]
	v_fma_f64 v[94:95], v[52:53], s[12:13], v[90:91]
	v_fma_f64 v[90:91], v[52:53], s[12:13], -v[90:91]
	v_add_f64 v[96:97], v[96:97], v[122:123]
	v_fma_f64 v[24:25], v[126:127], s[40:41], v[28:29]
	v_fma_f64 v[28:29], v[126:127], s[40:41], -v[28:29]
	v_add_f64 v[94:95], v[94:95], v[120:121]
	v_add_f64 v[90:91], v[90:91], v[99:100]
	v_fma_f64 v[99:100], v[52:53], s[24:25], v[38:39]
	v_fma_f64 v[120:121], v[36:37], s[44:45], v[54:55]
	;; [unrolled: 1-line block ×3, first 2 shown]
	v_fma_f64 v[38:39], v[52:53], s[24:25], -v[38:39]
	v_add_f64 v[24:25], v[24:25], v[42:43]
	v_add_f64 v[28:29], v[28:29], v[40:41]
	v_mul_f64 v[40:41], v[132:133], s[30:31]
	v_add_f64 v[99:100], v[99:100], v[124:125]
	v_add_f64 v[120:121], v[120:121], v[128:129]
	;; [unrolled: 1-line block ×5, first 2 shown]
	v_fma_f64 v[36:37], v[126:127], s[0:1], v[40:41]
	v_fma_f64 v[40:41], v[126:127], s[0:1], -v[40:41]
	v_mul_f64 v[42:43], v[128:129], s[0:1]
	v_mul_f64 v[30:31], v[128:129], s[40:41]
	v_add_f64 v[36:37], v[36:37], v[56:57]
	v_add_f64 v[40:41], v[40:41], v[50:51]
	v_mul_f64 v[50:51], v[128:129], s[38:39]
	v_mul_f64 v[56:57], v[132:133], s[46:47]
	v_fma_f64 v[38:39], v[130:131], s[2:3], v[42:43]
	v_fma_f64 v[42:43], v[130:131], s[30:31], v[42:43]
	;; [unrolled: 1-line block ×7, first 2 shown]
	v_fma_f64 v[56:57], v[126:127], s[12:13], -v[56:57]
	v_add_f64 v[42:43], v[42:43], v[58:59]
	v_mul_f64 v[58:59], v[128:129], s[12:13]
	v_add_f64 v[30:31], v[30:31], v[48:49]
	v_add_f64 v[38:39], v[38:39], v[64:65]
	;; [unrolled: 1-line block ×3, first 2 shown]
	v_mul_f64 v[72:73], v[132:133], s[36:37]
	v_add_f64 v[50:51], v[50:51], v[68:69]
	v_add_f64 v[56:57], v[56:57], v[70:71]
	;; [unrolled: 1-line block ×3, first 2 shown]
	v_fma_f64 v[54:55], v[130:131], s[4:5], v[58:59]
	v_fma_f64 v[58:59], v[130:131], s[46:47], v[58:59]
	v_mul_f64 v[48:49], v[132:133], s[42:43]
	v_mul_f64 v[64:65], v[132:133], s[28:29]
	v_fma_f64 v[68:69], v[126:127], s[16:17], v[72:73]
	v_add_f64 v[26:27], v[26:27], v[60:61]
	v_fma_f64 v[72:73], v[126:127], s[16:17], -v[72:73]
	v_add_f64 v[54:55], v[54:55], v[80:81]
	v_add_f64 v[58:59], v[58:59], v[76:77]
	v_fma_f64 v[44:45], v[126:127], s[38:39], v[48:49]
	v_fma_f64 v[60:61], v[126:127], s[34:35], v[64:65]
	v_add_f64 v[68:69], v[68:69], v[32:33]
	v_mul_f64 v[32:33], v[128:129], s[16:17]
	v_fma_f64 v[48:49], v[126:127], s[38:39], -v[48:49]
	v_fma_f64 v[64:65], v[126:127], s[34:35], -v[64:65]
	v_add_f64 v[72:73], v[72:73], v[86:87]
	v_add_f64 v[44:45], v[44:45], v[66:67]
	;; [unrolled: 1-line block ×3, first 2 shown]
	v_mul_f64 v[66:67], v[128:129], s[34:35]
	v_fma_f64 v[70:71], v[130:131], s[18:19], v[32:33]
	v_fma_f64 v[32:33], v[130:131], s[36:37], v[32:33]
	v_add_f64 v[48:49], v[48:49], v[62:63]
	v_add_f64 v[64:65], v[64:65], v[78:79]
	v_fma_f64 v[62:63], v[130:131], s[56:57], v[66:67]
	v_fma_f64 v[66:67], v[130:131], s[28:29], v[66:67]
	v_add_f64 v[74:75], v[32:33], v[34:35]
	v_mul_f64 v[32:33], v[132:133], s[26:27]
	v_add_f64 v[70:71], v[70:71], v[92:93]
	v_add_f64 v[62:63], v[62:63], v[88:89]
	;; [unrolled: 1-line block ×3, first 2 shown]
	v_fma_f64 v[34:35], v[126:127], s[24:25], v[32:33]
	v_fma_f64 v[32:33], v[126:127], s[24:25], -v[32:33]
	v_add_f64 v[76:77], v[34:35], v[94:95]
	v_mul_f64 v[34:35], v[128:129], s[24:25]
	v_add_f64 v[80:81], v[32:33], v[90:91]
	v_fma_f64 v[32:33], v[130:131], s[26:27], v[34:35]
	v_fma_f64 v[78:79], v[130:131], s[44:45], v[34:35]
	v_add_f64 v[82:83], v[32:33], v[96:97]
	v_mul_f64 v[32:33], v[132:133], s[52:53]
	v_add_f64 v[78:79], v[78:79], v[101:102]
	v_fma_f64 v[34:35], v[126:127], s[20:21], v[32:33]
	v_fma_f64 v[32:33], v[126:127], s[20:21], -v[32:33]
	v_add_f64 v[84:85], v[34:35], v[99:100]
	v_mul_f64 v[34:35], v[128:129], s[20:21]
	v_add_f64 v[88:89], v[32:33], v[122:123]
	v_fma_f64 v[32:33], v[130:131], s[52:53], v[34:35]
	v_fma_f64 v[86:87], v[130:131], s[22:23], v[34:35]
	v_add_f64 v[90:91], v[32:33], v[124:125]
	buffer_load_dword v32, off, s[60:63], 0 offset:692 ; 4-byte Folded Reload
	buffer_load_dword v33, off, s[60:63], 0 offset:696 ; 4-byte Folded Reload
	buffer_load_dword v34, off, s[60:63], 0 offset:700 ; 4-byte Folded Reload
	buffer_load_dword v35, off, s[60:63], 0 offset:704 ; 4-byte Folded Reload
	v_add_f64 v[86:87], v[86:87], v[120:121]
	s_waitcnt vmcnt(0)
	ds_write_b128 v148, v[32:35]
	ds_write_b128 v148, v[24:27] offset:16
	ds_write_b128 v148, v[36:39] offset:32
	ds_write_b128 v148, v[44:47] offset:48
	ds_write_b128 v148, v[52:55] offset:64
	ds_write_b128 v148, v[60:63] offset:80
	ds_write_b128 v148, v[68:71] offset:96
	ds_write_b128 v148, v[76:79] offset:112
	ds_write_b128 v148, v[84:87] offset:128
	ds_write_b128 v148, v[88:91] offset:144
	ds_write_b128 v148, v[80:83] offset:160
	ds_write_b128 v148, v[72:75] offset:176
	ds_write_b128 v148, v[64:67] offset:192
	ds_write_b128 v148, v[56:59] offset:208
	ds_write_b128 v148, v[48:51] offset:224
	ds_write_b128 v148, v[40:43] offset:240
	ds_write_b128 v148, v[28:31] offset:256
	s_and_saveexec_b64 s[58:59], vcc
	s_cbranch_execz .LBB0_13
; %bb.12:
	buffer_store_dword v199, off, s[60:63], 0 offset:692 ; 4-byte Folded Spill
	s_nop 0
	buffer_store_dword v200, off, s[60:63], 0 offset:696 ; 4-byte Folded Spill
	buffer_store_dword v201, off, s[60:63], 0 offset:700 ; 4-byte Folded Spill
	;; [unrolled: 1-line block ×4, first 2 shown]
	s_nop 0
	buffer_store_dword v204, off, s[60:63], 0 offset:712 ; 4-byte Folded Spill
	buffer_store_dword v205, off, s[60:63], 0 offset:716 ; 4-byte Folded Spill
	;; [unrolled: 1-line block ×3, first 2 shown]
	buffer_load_dword v202, off, s[60:63], 0 ; 4-byte Folded Reload
	s_nop 0
	buffer_load_dword v203, off, s[60:63], 0 offset:4 ; 4-byte Folded Reload
	buffer_load_dword v204, off, s[60:63], 0 offset:8 ; 4-byte Folded Reload
	;; [unrolled: 1-line block ×3, first 2 shown]
	s_nop 0
	buffer_store_dword v234, off, s[60:63], 0 offset:788 ; 4-byte Folded Spill
	s_nop 0
	buffer_store_dword v235, off, s[60:63], 0 offset:792 ; 4-byte Folded Spill
	buffer_store_dword v236, off, s[60:63], 0 offset:796 ; 4-byte Folded Spill
	;; [unrolled: 1-line block ×4, first 2 shown]
	s_nop 0
	buffer_store_dword v239, off, s[60:63], 0 offset:808 ; 4-byte Folded Spill
	buffer_store_dword v240, off, s[60:63], 0 offset:812 ; 4-byte Folded Spill
	;; [unrolled: 1-line block ×3, first 2 shown]
	v_mov_b32_e32 v239, v233
	v_add_f64 v[46:47], v[226:227], -v[230:231]
	v_add_f64 v[60:61], v[228:229], v[232:233]
	v_mov_b32_e32 v238, v232
	v_mov_b32_e32 v237, v231
	;; [unrolled: 1-line block ×7, first 2 shown]
	buffer_load_dword v227, off, s[60:63], 0 offset:96 ; 4-byte Folded Reload
	buffer_load_dword v228, off, s[60:63], 0 offset:100 ; 4-byte Folded Reload
	;; [unrolled: 1-line block ×12, first 2 shown]
	s_nop 0
	buffer_store_dword v207, off, s[60:63], 0 offset:724 ; 4-byte Folded Spill
	s_nop 0
	buffer_store_dword v208, off, s[60:63], 0 offset:728 ; 4-byte Folded Spill
	buffer_store_dword v209, off, s[60:63], 0 offset:732 ; 4-byte Folded Spill
	;; [unrolled: 1-line block ×3, first 2 shown]
	buffer_load_dword v206, off, s[60:63], 0 offset:16 ; 4-byte Folded Reload
	s_nop 0
	buffer_load_dword v207, off, s[60:63], 0 offset:20 ; 4-byte Folded Reload
	buffer_load_dword v208, off, s[60:63], 0 offset:24 ; 4-byte Folded Reload
	;; [unrolled: 1-line block ×3, first 2 shown]
	s_nop 0
	buffer_store_dword v219, off, s[60:63], 0 offset:772 ; 4-byte Folded Spill
	s_nop 0
	buffer_store_dword v220, off, s[60:63], 0 offset:776 ; 4-byte Folded Spill
	buffer_store_dword v221, off, s[60:63], 0 offset:780 ; 4-byte Folded Spill
	;; [unrolled: 1-line block ×3, first 2 shown]
	buffer_load_dword v219, off, s[60:63], 0 offset:64 ; 4-byte Folded Reload
	s_nop 0
	buffer_load_dword v220, off, s[60:63], 0 offset:68 ; 4-byte Folded Reload
	buffer_load_dword v221, off, s[60:63], 0 offset:72 ; 4-byte Folded Reload
	;; [unrolled: 1-line block ×3, first 2 shown]
	s_nop 0
	buffer_store_dword v211, off, s[60:63], 0 offset:740 ; 4-byte Folded Spill
	s_nop 0
	buffer_store_dword v212, off, s[60:63], 0 offset:744 ; 4-byte Folded Spill
	buffer_store_dword v213, off, s[60:63], 0 offset:748 ; 4-byte Folded Spill
	buffer_store_dword v214, off, s[60:63], 0 offset:752 ; 4-byte Folded Spill
	buffer_store_dword v215, off, s[60:63], 0 offset:756 ; 4-byte Folded Spill
	s_nop 0
	buffer_store_dword v216, off, s[60:63], 0 offset:760 ; 4-byte Folded Spill
	buffer_store_dword v217, off, s[60:63], 0 offset:764 ; 4-byte Folded Spill
	buffer_store_dword v218, off, s[60:63], 0 offset:768 ; 4-byte Folded Spill
	buffer_load_dword v214, off, s[60:63], 0 offset:48 ; 4-byte Folded Reload
	s_nop 0
	buffer_load_dword v215, off, s[60:63], 0 offset:52 ; 4-byte Folded Reload
	buffer_load_dword v216, off, s[60:63], 0 offset:56 ; 4-byte Folded Reload
	;; [unrolled: 1-line block ×7, first 2 shown]
	v_mov_b32_e32 v143, v47
	v_mul_f64 v[44:45], v[46:47], s[52:53]
	v_mov_b32_e32 v142, v46
	v_add_f64 v[78:79], v[233:234], -v[238:239]
	v_mov_b32_e32 v235, v98
	v_mov_b32_e32 v98, v188
	;; [unrolled: 1-line block ×3, first 2 shown]
	s_waitcnt vmcnt(54)
	v_add_f64 v[140:141], v[4:5], -v[202:203]
	s_waitcnt vmcnt(52)
	v_add_f64 v[74:75], v[6:7], v[204:205]
	v_add_f64 v[126:127], v[6:7], -v[204:205]
	v_add_f64 v[120:121], v[4:5], v[202:203]
	v_mul_f64 v[24:25], v[140:141], s[48:49]
	s_waitcnt vmcnt(42)
	v_add_f64 v[80:81], v[16:17], -v[227:228]
	s_waitcnt vmcnt(34)
	v_add_f64 v[82:83], v[86:87], -v[223:224]
	;; [unrolled: 2-line block ×4, first 2 shown]
	s_waitcnt vmcnt(24)
	v_add_f64 v[72:73], v[2:3], v[208:209]
	v_fma_f64 v[28:29], v[74:75], s[40:41], v[24:25]
	s_waitcnt vmcnt(18)
	v_add_f64 v[92:93], v[20:21], -v[219:220]
	s_waitcnt vmcnt(6)
	v_add_f64 v[101:102], v[12:13], -v[214:215]
	;; [unrolled: 2-line block ×3, first 2 shown]
	s_waitcnt vmcnt(0)
	v_add_f64 v[70:71], v[10:11], v[212:213]
	v_add_f64 v[68:69], v[14:15], v[216:217]
	v_mul_f64 v[26:27], v[138:139], s[30:31]
	v_add_f64 v[130:131], v[2:3], -v[208:209]
	v_add_f64 v[28:29], v[250:251], v[28:29]
	v_add_f64 v[66:67], v[22:23], v[221:222]
	v_mul_f64 v[34:35], v[101:102], s[46:47]
	v_mul_f64 v[30:31], v[122:123], s[42:43]
	v_add_f64 v[128:129], v[10:11], -v[212:213]
	v_mul_f64 v[38:39], v[92:93], s[28:29]
	v_fma_f64 v[32:33], v[72:73], s[0:1], v[26:27]
	v_add_f64 v[96:97], v[0:1], v[206:207]
	v_add_f64 v[124:125], v[14:15], -v[216:217]
	v_add_f64 v[99:100], v[8:9], v[210:211]
	v_fma_f64 v[40:41], v[68:69], s[12:13], v[34:35]
	v_fma_f64 v[36:37], v[70:71], s[38:39], v[30:31]
	v_fma_f64 v[24:25], v[74:75], s[40:41], -v[24:25]
	v_fma_f64 v[50:51], v[66:67], s[34:35], v[38:39]
	v_add_f64 v[28:29], v[32:33], v[28:29]
	v_mul_f64 v[32:33], v[126:127], s[48:49]
	v_add_f64 v[94:95], v[22:23], -v[221:222]
	v_add_f64 v[84:85], v[12:13], v[214:215]
	v_mul_f64 v[56:57], v[124:125], s[46:47]
	v_fma_f64 v[26:27], v[72:73], s[0:1], -v[26:27]
	v_add_f64 v[24:25], v[250:251], v[24:25]
	v_add_f64 v[76:77], v[20:21], v[219:220]
	;; [unrolled: 1-line block ×3, first 2 shown]
	v_mul_f64 v[36:37], v[130:131], s[30:31]
	v_fma_f64 v[42:43], v[120:121], s[40:41], -v[32:33]
	v_fma_f64 v[32:33], v[120:121], s[40:41], v[32:33]
	v_mul_f64 v[54:55], v[94:95], s[28:29]
	v_fma_f64 v[132:133], v[84:85], s[12:13], -v[56:57]
	v_add_f64 v[64:65], v[88:89], v[225:226]
	v_mul_f64 v[48:49], v[82:83], s[36:37]
	v_add_f64 v[28:29], v[40:41], v[28:29]
	v_mul_f64 v[40:41], v[128:129], s[42:43]
	v_fma_f64 v[52:53], v[96:97], s[0:1], -v[36:37]
	v_add_f64 v[42:43], v[248:249], v[42:43]
	v_fma_f64 v[36:37], v[96:97], s[0:1], v[36:37]
	v_add_f64 v[32:33], v[248:249], v[32:33]
	v_fma_f64 v[30:31], v[70:71], s[38:39], -v[30:31]
	v_add_f64 v[24:25], v[26:27], v[24:25]
	v_add_f64 v[28:29], v[50:51], v[28:29]
	v_fma_f64 v[50:51], v[99:100], s[38:39], -v[40:41]
	v_add_f64 v[172:173], v[18:19], -v[229:230]
	v_add_f64 v[42:43], v[52:53], v[42:43]
	v_add_f64 v[136:137], v[86:87], v[223:224]
	v_mul_f64 v[26:27], v[90:91], s[36:37]
	v_add_f64 v[32:33], v[36:37], v[32:33]
	v_add_f64 v[62:63], v[18:19], v[229:230]
	v_mul_f64 v[46:47], v[80:81], s[26:27]
	v_fma_f64 v[58:59], v[64:65], s[16:17], v[48:49]
	v_fma_f64 v[40:41], v[99:100], s[38:39], v[40:41]
	v_add_f64 v[42:43], v[50:51], v[42:43]
	v_fma_f64 v[50:51], v[76:77], s[34:35], -v[54:55]
	v_fma_f64 v[34:35], v[68:69], s[12:13], -v[34:35]
	v_add_f64 v[24:25], v[30:31], v[24:25]
	v_add_f64 v[134:135], v[16:17], v[227:228]
	v_mul_f64 v[30:31], v[172:173], s[26:27]
	v_fma_f64 v[52:53], v[62:63], s[24:25], v[46:47]
	v_add_f64 v[28:29], v[58:59], v[28:29]
	v_add_f64 v[36:37], v[132:133], v[42:43]
	v_fma_f64 v[42:43], v[136:137], s[16:17], -v[26:27]
	v_fma_f64 v[56:57], v[84:85], s[12:13], v[56:57]
	v_add_f64 v[32:33], v[40:41], v[32:33]
	v_fma_f64 v[38:39], v[66:67], s[34:35], -v[38:39]
	v_add_f64 v[24:25], v[34:35], v[24:25]
	v_add_f64 v[132:133], v[231:232], v[236:237]
	v_mul_f64 v[34:35], v[78:79], s[52:53]
	v_add_f64 v[36:37], v[50:51], v[36:37]
	v_fma_f64 v[40:41], v[134:135], s[24:25], -v[30:31]
	v_fma_f64 v[50:51], v[76:77], s[34:35], v[54:55]
	v_add_f64 v[32:33], v[56:57], v[32:33]
	v_add_f64 v[28:29], v[52:53], v[28:29]
	;; [unrolled: 1-line block ×3, first 2 shown]
	v_fma_f64 v[38:39], v[60:61], s[20:21], v[44:45]
	v_fma_f64 v[52:53], v[136:137], s[16:17], v[26:27]
	v_add_f64 v[36:37], v[42:43], v[36:37]
	v_fma_f64 v[42:43], v[64:65], s[16:17], -v[48:49]
	v_fma_f64 v[48:49], v[132:133], s[20:21], -v[34:35]
	v_add_f64 v[32:33], v[50:51], v[32:33]
	v_mul_f64 v[56:57], v[130:131], s[36:37]
	v_mul_f64 v[146:147], v[101:102], s[56:57]
	v_add_f64 v[26:27], v[38:39], v[28:29]
	v_mul_f64 v[38:39], v[140:141], s[42:43]
	v_add_f64 v[36:37], v[40:41], v[36:37]
	v_add_f64 v[42:43], v[42:43], v[24:25]
	v_fma_f64 v[40:41], v[62:63], s[24:25], -v[46:47]
	v_fma_f64 v[28:29], v[134:135], s[24:25], v[30:31]
	v_add_f64 v[30:31], v[52:53], v[32:33]
	v_mul_f64 v[46:47], v[138:139], s[36:37]
	v_mul_f64 v[52:53], v[92:93], s[2:3]
	v_mul_f64 v[151:152], v[128:129], s[22:23]
	v_add_f64 v[24:25], v[48:49], v[36:37]
	v_fma_f64 v[48:49], v[74:75], s[38:39], v[38:39]
	buffer_store_dword v24, off, s[60:63], 0 offset:828 ; 4-byte Folded Spill
	s_nop 0
	buffer_store_dword v25, off, s[60:63], 0 offset:832 ; 4-byte Folded Spill
	buffer_store_dword v26, off, s[60:63], 0 offset:836 ; 4-byte Folded Spill
	;; [unrolled: 1-line block ×3, first 2 shown]
	v_mov_b32_e32 v24, v142
	v_add_f64 v[28:29], v[28:29], v[30:31]
	v_mul_f64 v[30:31], v[126:127], s[42:43]
	v_mov_b32_e32 v25, v143
	v_mul_f64 v[142:143], v[122:123], s[22:23]
	v_fma_f64 v[144:145], v[72:73], s[16:17], v[46:47]
	v_add_f64 v[48:49], v[250:251], v[48:49]
	v_fma_f64 v[38:39], v[74:75], s[38:39], -v[38:39]
	v_fma_f64 v[153:154], v[96:97], s[16:17], -v[56:57]
	v_fma_f64 v[46:47], v[72:73], s[16:17], -v[46:47]
	v_fma_f64 v[58:59], v[120:121], s[38:39], -v[30:31]
	v_fma_f64 v[30:31], v[120:121], s[38:39], v[30:31]
	v_fma_f64 v[155:156], v[70:71], s[20:21], v[142:143]
	;; [unrolled: 1-line block ×3, first 2 shown]
	v_add_f64 v[48:49], v[144:145], v[48:49]
	v_fma_f64 v[144:145], v[68:69], s[34:35], v[146:147]
	v_add_f64 v[38:39], v[250:251], v[38:39]
	v_add_f64 v[36:37], v[40:41], v[42:43]
	;; [unrolled: 1-line block ×4, first 2 shown]
	v_fma_f64 v[42:43], v[132:133], s[20:21], v[34:35]
	v_mul_f64 v[34:35], v[82:83], s[48:49]
	v_add_f64 v[48:49], v[155:156], v[48:49]
	buffer_store_dword v149, off, s[60:63], 0 offset:820 ; 4-byte Folded Spill
	v_fma_f64 v[148:149], v[66:67], s[0:1], v[52:53]
	v_mul_f64 v[158:159], v[124:125], s[56:57]
	v_fma_f64 v[160:161], v[99:100], s[20:21], -v[151:152]
	v_add_f64 v[58:59], v[153:154], v[58:59]
	v_fma_f64 v[142:143], v[70:71], s[20:21], -v[142:143]
	v_add_f64 v[38:39], v[46:47], v[38:39]
	v_add_f64 v[46:47], v[144:145], v[48:49]
	v_fma_f64 v[48:49], v[99:100], s[20:21], v[151:152]
	v_add_f64 v[30:31], v[56:57], v[30:31]
	v_fma_f64 v[54:55], v[64:65], s[40:41], v[34:35]
	v_mul_f64 v[153:154], v[94:95], s[2:3]
	v_fma_f64 v[155:156], v[84:85], s[34:35], -v[158:159]
	v_add_f64 v[58:59], v[160:161], v[58:59]
	v_add_f64 v[38:39], v[142:143], v[38:39]
	v_add_f64 v[46:47], v[148:149], v[46:47]
	v_fma_f64 v[142:143], v[84:85], s[34:35], v[158:159]
	v_add_f64 v[30:31], v[48:49], v[30:31]
	v_mul_f64 v[56:57], v[90:91], s[48:49]
	v_fma_f64 v[144:145], v[76:77], s[0:1], -v[153:154]
	v_fma_f64 v[32:33], v[60:61], s[20:21], -v[44:45]
	v_add_f64 v[58:59], v[155:156], v[58:59]
	v_mul_f64 v[48:49], v[172:173], s[46:47]
	v_add_f64 v[46:47], v[54:55], v[46:47]
	v_fma_f64 v[54:55], v[76:77], s[0:1], v[153:154]
	v_add_f64 v[30:31], v[142:143], v[30:31]
	v_fma_f64 v[148:149], v[136:137], s[40:41], -v[56:57]
	v_fma_f64 v[56:57], v[136:137], s[40:41], v[56:57]
	v_mul_f64 v[40:41], v[80:81], s[46:47]
	v_add_f64 v[58:59], v[144:145], v[58:59]
	v_fma_f64 v[146:147], v[68:69], s[34:35], -v[146:147]
	v_fma_f64 v[144:145], v[134:135], s[12:13], -v[48:49]
	v_add_f64 v[32:33], v[32:33], v[36:37]
	v_add_f64 v[30:31], v[54:55], v[30:31]
	v_fma_f64 v[36:37], v[134:135], s[12:13], v[48:49]
	v_mul_f64 v[44:45], v[24:25], s[26:27]
	v_fma_f64 v[50:51], v[62:63], s[12:13], v[40:41]
	v_add_f64 v[58:59], v[148:149], v[58:59]
	v_fma_f64 v[52:53], v[66:67], s[0:1], -v[52:53]
	v_add_f64 v[38:39], v[146:147], v[38:39]
	v_mul_f64 v[142:143], v[78:79], s[26:27]
	v_add_f64 v[48:49], v[56:57], v[30:31]
	v_add_f64 v[30:31], v[42:43], v[28:29]
	v_fma_f64 v[42:43], v[60:61], s[24:25], -v[44:45]
	v_add_f64 v[46:47], v[50:51], v[46:47]
	v_add_f64 v[54:55], v[144:145], v[58:59]
	v_mul_f64 v[58:59], v[126:127], s[28:29]
	v_add_f64 v[38:39], v[52:53], v[38:39]
	v_fma_f64 v[52:53], v[60:61], s[24:25], v[44:45]
	v_add_f64 v[36:37], v[36:37], v[48:49]
	v_mul_f64 v[48:49], v[140:141], s[28:29]
	v_fma_f64 v[50:51], v[132:133], s[24:25], -v[142:143]
	v_fma_f64 v[44:45], v[132:133], s[24:25], v[142:143]
	v_mul_f64 v[142:143], v[138:139], s[44:45]
	v_mul_f64 v[155:156], v[130:131], s[44:45]
	v_fma_f64 v[158:159], v[120:121], s[34:35], -v[58:59]
	v_mul_f64 v[148:149], v[122:123], s[2:3]
	v_fma_f64 v[58:59], v[120:121], s[34:35], v[58:59]
	v_fma_f64 v[146:147], v[74:75], s[34:35], v[48:49]
	v_fma_f64 v[48:49], v[74:75], s[34:35], -v[48:49]
	v_mul_f64 v[164:165], v[128:129], s[2:3]
	v_fma_f64 v[160:161], v[72:73], s[24:25], v[142:143]
	v_fma_f64 v[166:167], v[96:97], s[24:25], -v[155:156]
	v_add_f64 v[158:159], v[248:249], v[158:159]
	v_add_f64 v[26:27], v[50:51], v[54:55]
	v_mul_f64 v[54:55], v[101:102], s[42:43]
	v_add_f64 v[146:147], v[250:251], v[146:147]
	v_fma_f64 v[162:163], v[70:71], s[0:1], v[148:149]
	v_fma_f64 v[142:143], v[72:73], s[24:25], -v[142:143]
	v_add_f64 v[48:49], v[250:251], v[48:49]
	v_fma_f64 v[155:156], v[96:97], s[24:25], v[155:156]
	v_add_f64 v[58:59], v[248:249], v[58:59]
	v_fma_f64 v[168:169], v[99:100], s[0:1], -v[164:165]
	v_add_f64 v[158:159], v[166:167], v[158:159]
	v_add_f64 v[146:147], v[160:161], v[146:147]
	v_mul_f64 v[160:161], v[124:125], s[42:43]
	v_fma_f64 v[34:35], v[64:65], s[40:41], -v[34:35]
	v_add_f64 v[28:29], v[52:53], v[46:47]
	v_mul_f64 v[52:53], v[92:93], s[52:53]
	v_fma_f64 v[153:154], v[68:69], s[38:39], v[54:55]
	v_fma_f64 v[148:149], v[70:71], s[0:1], -v[148:149]
	v_add_f64 v[48:49], v[142:143], v[48:49]
	v_add_f64 v[142:143], v[162:163], v[146:147]
	v_fma_f64 v[146:147], v[99:100], s[0:1], v[164:165]
	v_add_f64 v[58:59], v[155:156], v[58:59]
	v_mul_f64 v[155:156], v[94:95], s[52:53]
	v_fma_f64 v[162:163], v[84:85], s[38:39], -v[160:161]
	v_add_f64 v[158:159], v[168:169], v[158:159]
	v_fma_f64 v[40:41], v[62:63], s[12:13], -v[40:41]
	v_add_f64 v[38:39], v[34:35], v[38:39]
	v_mul_f64 v[46:47], v[82:83], s[4:5]
	v_fma_f64 v[151:152], v[66:67], s[20:21], v[52:53]
	v_fma_f64 v[54:55], v[68:69], s[38:39], -v[54:55]
	v_add_f64 v[48:49], v[148:149], v[48:49]
	v_add_f64 v[142:143], v[153:154], v[142:143]
	v_fma_f64 v[148:149], v[84:85], s[38:39], v[160:161]
	v_add_f64 v[58:59], v[146:147], v[58:59]
	v_mul_f64 v[146:147], v[90:91], s[4:5]
	v_fma_f64 v[153:154], v[76:77], s[20:21], -v[155:156]
	v_add_f64 v[158:159], v[162:163], v[158:159]
	v_add_f64 v[38:39], v[40:41], v[38:39]
	v_mul_f64 v[40:41], v[80:81], s[48:49]
	v_fma_f64 v[144:145], v[64:65], s[12:13], v[46:47]
	v_fma_f64 v[52:53], v[66:67], s[20:21], -v[52:53]
	v_add_f64 v[48:49], v[54:55], v[48:49]
	v_add_f64 v[54:55], v[151:152], v[142:143]
	v_fma_f64 v[142:143], v[76:77], s[20:21], v[155:156]
	v_add_f64 v[58:59], v[148:149], v[58:59]
	v_mul_f64 v[148:149], v[172:173], s[48:49]
	v_fma_f64 v[151:152], v[136:137], s[12:13], -v[146:147]
	v_add_f64 v[153:154], v[153:154], v[158:159]
	v_mul_f64 v[50:51], v[24:25], s[36:37]
	v_fma_f64 v[56:57], v[62:63], s[40:41], v[40:41]
	v_fma_f64 v[46:47], v[64:65], s[12:13], -v[46:47]
	v_add_f64 v[48:49], v[52:53], v[48:49]
	v_add_f64 v[52:53], v[144:145], v[54:55]
	v_fma_f64 v[54:55], v[136:137], s[12:13], v[146:147]
	v_add_f64 v[58:59], v[142:143], v[58:59]
	v_mul_f64 v[142:143], v[78:79], s[36:37]
	v_fma_f64 v[144:145], v[134:135], s[40:41], -v[148:149]
	v_add_f64 v[146:147], v[151:152], v[153:154]
	buffer_store_dword v30, off, s[60:63], 0 offset:860 ; 4-byte Folded Spill
	s_nop 0
	buffer_store_dword v31, off, s[60:63], 0 offset:864 ; 4-byte Folded Spill
	buffer_store_dword v32, off, s[60:63], 0 offset:868 ; 4-byte Folded Spill
	;; [unrolled: 1-line block ×4, first 2 shown]
	s_nop 0
	buffer_store_dword v27, off, s[60:63], 0 offset:848 ; 4-byte Folded Spill
	buffer_store_dword v28, off, s[60:63], 0 offset:852 ; 4-byte Folded Spill
	buffer_store_dword v29, off, s[60:63], 0 offset:856 ; 4-byte Folded Spill
	v_mov_b32_e32 v29, v25
	v_mov_b32_e32 v28, v24
	v_add_f64 v[26:27], v[42:43], v[38:39]
	v_add_f64 v[24:25], v[44:45], v[36:37]
	;; [unrolled: 1-line block ×3, first 2 shown]
	v_fma_f64 v[48:49], v[60:61], s[16:17], v[50:51]
	v_add_f64 v[54:55], v[54:55], v[58:59]
	v_add_f64 v[52:53], v[56:57], v[52:53]
	v_fma_f64 v[56:57], v[132:133], s[16:17], -v[142:143]
	v_add_f64 v[58:59], v[144:145], v[146:147]
	v_fma_f64 v[40:41], v[62:63], s[40:41], -v[40:41]
	v_fma_f64 v[148:149], v[134:135], s[40:41], v[148:149]
	buffer_store_dword v24, off, s[60:63], 0 offset:876 ; 4-byte Folded Spill
	s_nop 0
	buffer_store_dword v25, off, s[60:63], 0 offset:880 ; 4-byte Folded Spill
	buffer_store_dword v26, off, s[60:63], 0 offset:884 ; 4-byte Folded Spill
	;; [unrolled: 1-line block ×3, first 2 shown]
	v_fma_f64 v[50:51], v[60:61], s[16:17], -v[50:51]
	v_fma_f64 v[142:143], v[132:133], s[16:17], v[142:143]
	v_add_f64 v[26:27], v[48:49], v[52:53]
	v_mul_f64 v[144:145], v[140:141], s[26:27]
	v_add_f64 v[24:25], v[56:57], v[58:59]
	v_add_f64 v[46:47], v[40:41], v[46:47]
	;; [unrolled: 1-line block ×3, first 2 shown]
	v_mul_f64 v[52:53], v[126:127], s[26:27]
	buffer_store_dword v24, off, s[60:63], 0 offset:892 ; 4-byte Folded Spill
	s_nop 0
	buffer_store_dword v25, off, s[60:63], 0 offset:896 ; 4-byte Folded Spill
	buffer_store_dword v26, off, s[60:63], 0 offset:900 ; 4-byte Folded Spill
	;; [unrolled: 1-line block ×3, first 2 shown]
	v_add_f64 v[26:27], v[50:51], v[46:47]
	v_mul_f64 v[50:51], v[138:139], s[50:51]
	v_add_f64 v[24:25], v[142:143], v[54:55]
	v_fma_f64 v[54:55], v[74:75], s[24:25], v[144:145]
	v_mul_f64 v[151:152], v[130:131], s[50:51]
	v_fma_f64 v[153:154], v[120:121], s[24:25], -v[52:53]
	v_mul_f64 v[142:143], v[122:123], s[46:47]
	v_fma_f64 v[144:145], v[74:75], s[24:25], -v[144:145]
	v_mul_f64 v[162:163], v[128:129], s[46:47]
	v_fma_f64 v[148:149], v[72:73], s[38:39], v[50:51]
	v_mul_f64 v[158:159], v[101:102], s[18:19]
	v_add_f64 v[54:55], v[250:251], v[54:55]
	v_fma_f64 v[164:165], v[96:97], s[38:39], -v[151:152]
	v_add_f64 v[153:154], v[248:249], v[153:154]
	v_fma_f64 v[160:161], v[70:71], s[12:13], v[142:143]
	v_fma_f64 v[50:51], v[72:73], s[38:39], -v[50:51]
	v_add_f64 v[144:145], v[250:251], v[144:145]
	v_mul_f64 v[168:169], v[124:125], s[18:19]
	v_fma_f64 v[170:171], v[99:100], s[12:13], -v[162:163]
	v_add_f64 v[54:55], v[148:149], v[54:55]
	v_mul_f64 v[148:149], v[92:93], s[48:49]
	v_add_f64 v[153:154], v[164:165], v[153:154]
	v_fma_f64 v[166:167], v[68:69], s[16:17], v[158:159]
	v_fma_f64 v[142:143], v[70:71], s[12:13], -v[142:143]
	v_fma_f64 v[52:53], v[120:121], s[24:25], v[52:53]
	v_add_f64 v[50:51], v[50:51], v[144:145]
	v_mul_f64 v[144:145], v[94:95], s[48:49]
	v_add_f64 v[54:55], v[160:161], v[54:55]
	v_fma_f64 v[164:165], v[84:85], s[16:17], -v[168:169]
	v_add_f64 v[153:154], v[170:171], v[153:154]
	v_mul_f64 v[56:57], v[82:83], s[52:53]
	v_fma_f64 v[160:161], v[66:67], s[40:41], v[148:149]
	v_fma_f64 v[158:159], v[68:69], s[16:17], -v[158:159]
	v_fma_f64 v[151:152], v[96:97], s[38:39], v[151:152]
	v_add_f64 v[52:53], v[248:249], v[52:53]
	v_add_f64 v[54:55], v[166:167], v[54:55]
	;; [unrolled: 1-line block ×3, first 2 shown]
	v_mul_f64 v[142:143], v[90:91], s[52:53]
	v_fma_f64 v[166:167], v[76:77], s[40:41], -v[144:145]
	v_add_f64 v[153:154], v[164:165], v[153:154]
	v_mov_b32_e32 v36, v172
	v_mov_b32_e32 v37, v173
	v_mul_f64 v[48:49], v[80:81], s[2:3]
	v_fma_f64 v[155:156], v[64:65], s[20:21], v[56:57]
	v_add_f64 v[54:55], v[160:161], v[54:55]
	v_fma_f64 v[148:149], v[66:67], s[40:41], -v[148:149]
	v_fma_f64 v[160:161], v[99:100], s[12:13], v[162:163]
	v_add_f64 v[52:53], v[151:152], v[52:53]
	v_add_f64 v[50:51], v[158:159], v[50:51]
	v_mul_f64 v[151:152], v[36:37], s[2:3]
	v_fma_f64 v[158:159], v[136:137], s[20:21], -v[142:143]
	v_add_f64 v[153:154], v[166:167], v[153:154]
	v_fma_f64 v[146:147], v[62:63], s[0:1], v[48:49]
	v_add_f64 v[54:55], v[155:156], v[54:55]
	v_fma_f64 v[56:57], v[64:65], s[20:21], -v[56:57]
	v_fma_f64 v[155:156], v[84:85], s[16:17], v[168:169]
	v_add_f64 v[52:53], v[160:161], v[52:53]
	v_add_f64 v[50:51], v[148:149], v[50:51]
	v_mul_f64 v[148:149], v[78:79], s[28:29]
	v_fma_f64 v[160:161], v[134:135], s[0:1], -v[151:152]
	v_add_f64 v[153:154], v[158:159], v[153:154]
	v_mul_f64 v[58:59], v[28:29], s[28:29]
	v_fma_f64 v[48:49], v[62:63], s[0:1], -v[48:49]
	v_fma_f64 v[144:145], v[76:77], s[40:41], v[144:145]
	v_add_f64 v[52:53], v[155:156], v[52:53]
	v_add_f64 v[50:51], v[56:57], v[50:51]
	v_add_f64 v[54:55], v[146:147], v[54:55]
	v_fma_f64 v[56:57], v[132:133], s[34:35], -v[148:149]
	v_add_f64 v[146:147], v[160:161], v[153:154]
	v_mul_f64 v[153:154], v[140:141], s[22:23]
	v_fma_f64 v[158:159], v[60:61], s[34:35], v[58:59]
	v_fma_f64 v[58:59], v[60:61], s[34:35], -v[58:59]
	v_fma_f64 v[142:143], v[136:137], s[20:21], v[142:143]
	v_add_f64 v[52:53], v[144:145], v[52:53]
	v_add_f64 v[144:145], v[48:49], v[50:51]
	v_mul_f64 v[155:156], v[138:139], s[48:49]
	v_add_f64 v[48:49], v[56:57], v[146:147]
	v_mul_f64 v[56:57], v[126:127], s[22:23]
	v_fma_f64 v[146:147], v[74:75], s[20:21], v[153:154]
	v_add_f64 v[50:51], v[158:159], v[54:55]
	v_fma_f64 v[151:152], v[134:135], s[0:1], v[151:152]
	v_add_f64 v[52:53], v[142:143], v[52:53]
	v_add_f64 v[54:55], v[58:59], v[144:145]
	v_mul_f64 v[58:59], v[122:123], s[44:45]
	v_fma_f64 v[142:143], v[72:73], s[40:41], v[155:156]
	v_mul_f64 v[144:145], v[130:131], s[48:49]
	v_fma_f64 v[158:159], v[120:121], s[20:21], -v[56:57]
	v_add_f64 v[146:147], v[250:251], v[146:147]
	v_mul_f64 v[162:163], v[128:129], s[44:45]
	v_add_f64 v[52:53], v[151:152], v[52:53]
	v_mul_f64 v[151:152], v[101:102], s[30:31]
	v_fma_f64 v[160:161], v[70:71], s[24:25], v[58:59]
	v_mul_f64 v[166:167], v[92:93], s[18:19]
	v_fma_f64 v[164:165], v[96:97], s[40:41], -v[144:145]
	v_add_f64 v[158:159], v[248:249], v[158:159]
	v_add_f64 v[142:143], v[142:143], v[146:147]
	v_mul_f64 v[170:171], v[124:125], s[30:31]
	v_fma_f64 v[172:173], v[99:100], s[24:25], -v[162:163]
	v_fma_f64 v[168:169], v[68:69], s[0:1], v[151:152]
	v_fma_f64 v[153:154], v[74:75], s[20:21], -v[153:154]
	v_mov_b32_e32 v42, v174
	v_mov_b32_e32 v43, v175
	v_add_f64 v[158:159], v[164:165], v[158:159]
	v_add_f64 v[142:143], v[160:161], v[142:143]
	v_mul_f64 v[160:161], v[82:83], s[42:43]
	v_fma_f64 v[164:165], v[66:67], s[16:17], v[166:167]
	v_mov_b32_e32 v44, v176
	v_mov_b32_e32 v45, v177
	v_mul_f64 v[174:175], v[94:95], s[18:19]
	v_fma_f64 v[176:177], v[84:85], s[0:1], -v[170:171]
	v_fma_f64 v[155:156], v[72:73], s[40:41], -v[155:156]
	v_add_f64 v[153:154], v[250:251], v[153:154]
	v_add_f64 v[158:159], v[172:173], v[158:159]
	;; [unrolled: 1-line block ×3, first 2 shown]
	v_mov_b32_e32 v38, v179
	buffer_store_dword v24, off, s[60:63], 0 offset:908 ; 4-byte Folded Spill
	s_nop 0
	buffer_store_dword v25, off, s[60:63], 0 offset:912 ; 4-byte Folded Spill
	buffer_store_dword v26, off, s[60:63], 0 offset:916 ; 4-byte Folded Spill
	;; [unrolled: 1-line block ×3, first 2 shown]
	v_mul_f64 v[168:169], v[80:81], s[56:57]
	v_fma_f64 v[172:173], v[64:65], s[38:39], v[160:161]
	buffer_store_dword v178, off, s[60:63], 0 offset:924 ; 4-byte Folded Spill
	v_mov_b32_e32 v39, v180
	v_mov_b32_e32 v40, v181
	;; [unrolled: 1-line block ×3, first 2 shown]
	v_mul_f64 v[178:179], v[90:91], s[42:43]
	v_fma_f64 v[180:181], v[76:77], s[16:17], -v[174:175]
	v_fma_f64 v[58:59], v[70:71], s[24:25], -v[58:59]
	v_add_f64 v[153:154], v[155:156], v[153:154]
	v_add_f64 v[155:156], v[176:177], v[158:159]
	;; [unrolled: 1-line block ×3, first 2 shown]
	v_mul_f64 v[146:147], v[28:29], s[46:47]
	v_fma_f64 v[158:159], v[62:63], s[34:35], v[168:169]
	v_mul_f64 v[164:165], v[36:37], s[56:57]
	v_fma_f64 v[176:177], v[136:137], s[38:39], -v[178:179]
	v_fma_f64 v[151:152], v[68:69], s[0:1], -v[151:152]
	v_fma_f64 v[56:57], v[120:121], s[20:21], v[56:57]
	v_add_f64 v[58:59], v[58:59], v[153:154]
	v_add_f64 v[153:154], v[180:181], v[155:156]
	;; [unrolled: 1-line block ×3, first 2 shown]
	v_mul_f64 v[155:156], v[78:79], s[46:47]
	v_fma_f64 v[172:173], v[134:135], s[34:35], -v[164:165]
	v_fma_f64 v[166:167], v[66:67], s[16:17], -v[166:167]
	v_fma_f64 v[144:145], v[96:97], s[40:41], v[144:145]
	v_add_f64 v[56:57], v[248:249], v[56:57]
	v_add_f64 v[58:59], v[151:152], v[58:59]
	;; [unrolled: 1-line block ×3, first 2 shown]
	v_fma_f64 v[153:154], v[60:61], s[12:13], v[146:147]
	v_add_f64 v[142:143], v[158:159], v[142:143]
	v_fma_f64 v[148:149], v[132:133], s[34:35], v[148:149]
	v_fma_f64 v[158:159], v[132:133], s[12:13], -v[155:156]
	v_fma_f64 v[160:161], v[64:65], s[38:39], -v[160:161]
	v_fma_f64 v[162:163], v[99:100], s[24:25], v[162:163]
	v_add_f64 v[56:57], v[144:145], v[56:57]
	v_add_f64 v[144:145], v[166:167], v[58:59]
	;; [unrolled: 1-line block ×4, first 2 shown]
	v_mul_f64 v[153:154], v[140:141], s[18:19]
	v_add_f64 v[52:53], v[148:149], v[52:53]
	v_fma_f64 v[148:149], v[84:85], s[0:1], v[170:171]
	v_fma_f64 v[142:143], v[62:63], s[34:35], -v[168:169]
	v_add_f64 v[162:163], v[162:163], v[56:57]
	v_add_f64 v[144:145], v[160:161], v[144:145]
	;; [unrolled: 1-line block ×3, first 2 shown]
	v_mul_f64 v[151:152], v[126:127], s[18:19]
	v_mul_f64 v[160:161], v[138:139], s[28:29]
	v_fma_f64 v[166:167], v[74:75], s[16:17], v[153:154]
	v_fma_f64 v[158:159], v[76:77], s[16:17], v[174:175]
	v_mul_f64 v[170:171], v[122:123], s[54:55]
	v_add_f64 v[148:149], v[148:149], v[162:163]
	v_mul_f64 v[162:163], v[130:131], s[28:29]
	v_add_f64 v[142:143], v[142:143], v[144:145]
	v_fma_f64 v[168:169], v[120:121], s[16:17], -v[151:152]
	v_fma_f64 v[172:173], v[72:73], s[34:35], v[160:161]
	v_add_f64 v[166:167], v[250:251], v[166:167]
	v_fma_f64 v[144:145], v[136:137], s[38:39], v[178:179]
	v_mul_f64 v[176:177], v[101:102], s[44:45]
	v_add_f64 v[148:149], v[158:159], v[148:149]
	v_fma_f64 v[158:159], v[134:135], s[34:35], v[164:165]
	v_mul_f64 v[164:165], v[128:129], s[54:55]
	v_fma_f64 v[174:175], v[96:97], s[34:35], -v[162:163]
	v_add_f64 v[168:169], v[248:249], v[168:169]
	v_fma_f64 v[178:179], v[70:71], s[40:41], v[170:171]
	v_add_f64 v[166:167], v[172:173], v[166:167]
	v_fma_f64 v[153:154], v[74:75], s[16:17], -v[153:154]
	v_add_f64 v[144:145], v[144:145], v[148:149]
	v_mul_f64 v[172:173], v[124:125], s[44:45]
	v_fma_f64 v[148:149], v[99:100], s[40:41], -v[164:165]
	v_fma_f64 v[180:181], v[68:69], s[24:25], v[176:177]
	v_add_f64 v[168:169], v[174:175], v[168:169]
	v_mul_f64 v[174:175], v[92:93], s[46:47]
	v_add_f64 v[166:167], v[178:179], v[166:167]
	v_fma_f64 v[160:161], v[72:73], s[34:35], -v[160:161]
	v_add_f64 v[153:154], v[250:251], v[153:154]
	v_mov_b32_e32 v32, v116
	v_mov_b32_e32 v33, v117
	;; [unrolled: 1-line block ×21, first 2 shown]
	v_mul_f64 v[178:179], v[94:95], s[46:47]
	v_mov_b32_e32 v242, v185
	v_mov_b32_e32 v241, v184
	v_mov_b32_e32 v240, v183
	v_fma_f64 v[182:183], v[84:85], s[24:25], -v[172:173]
	v_add_f64 v[148:149], v[148:149], v[168:169]
	v_mul_f64 v[168:169], v[82:83], s[2:3]
	v_fma_f64 v[184:185], v[66:67], s[12:13], v[174:175]
	v_add_f64 v[166:167], v[180:181], v[166:167]
	v_fma_f64 v[170:171], v[70:71], s[40:41], -v[170:171]
	v_add_f64 v[153:154], v[160:161], v[153:154]
	v_mov_b32_e32 v27, v19
	v_mov_b32_e32 v26, v18
	;; [unrolled: 1-line block ×9, first 2 shown]
	v_mul_f64 v[180:181], v[90:91], s[2:3]
	v_mov_b32_e32 v10, v2
	v_mov_b32_e32 v9, v1
	;; [unrolled: 1-line block ×5, first 2 shown]
	v_fma_f64 v[186:187], v[76:77], s[12:13], -v[178:179]
	v_add_f64 v[148:149], v[182:183], v[148:149]
	v_mul_f64 v[160:161], v[80:81], s[22:23]
	v_fma_f64 v[182:183], v[64:65], s[0:1], v[168:169]
	v_add_f64 v[166:167], v[184:185], v[166:167]
	v_fma_f64 v[176:177], v[68:69], s[24:25], -v[176:177]
	v_add_f64 v[153:154], v[170:171], v[153:154]
	v_mov_b32_e32 v2, v28
	v_mov_b32_e32 v247, v192
	v_mov_b32_e32 v3, v29
	v_fma_f64 v[146:147], v[60:61], s[12:13], -v[146:147]
	v_mul_f64 v[184:185], v[36:37], s[22:23]
	v_mov_b32_e32 v246, v191
	v_mov_b32_e32 v245, v190
	v_mov_b32_e32 v244, v189
	v_fma_f64 v[188:189], v[136:137], s[0:1], -v[180:181]
	v_add_f64 v[148:149], v[186:187], v[148:149]
	v_mul_f64 v[170:171], v[2:3], s[42:43]
	v_fma_f64 v[186:187], v[62:63], s[20:21], v[160:161]
	v_add_f64 v[166:167], v[182:183], v[166:167]
	v_fma_f64 v[174:175], v[66:67], s[12:13], -v[174:175]
	v_add_f64 v[153:154], v[176:177], v[153:154]
	v_fma_f64 v[155:156], v[132:133], s[12:13], v[155:156]
	v_add_f64 v[158:159], v[158:159], v[144:145]
	v_mul_f64 v[182:183], v[78:79], s[42:43]
	v_fma_f64 v[190:191], v[134:135], s[20:21], -v[184:185]
	v_add_f64 v[148:149], v[188:189], v[148:149]
	v_fma_f64 v[176:177], v[60:61], s[38:39], v[170:171]
	v_add_f64 v[166:167], v[186:187], v[166:167]
	v_fma_f64 v[168:169], v[64:65], s[0:1], -v[168:169]
	v_add_f64 v[153:154], v[174:175], v[153:154]
	v_add_f64 v[144:145], v[146:147], v[142:143]
	;; [unrolled: 1-line block ×3, first 2 shown]
	v_fma_f64 v[151:152], v[120:121], s[16:17], v[151:152]
	v_mul_f64 v[158:159], v[140:141], s[4:5]
	v_fma_f64 v[186:187], v[132:133], s[38:39], -v[182:183]
	v_add_f64 v[174:175], v[190:191], v[148:149]
	v_add_f64 v[148:149], v[176:177], v[166:167]
	v_fma_f64 v[155:156], v[62:63], s[20:21], -v[160:161]
	v_add_f64 v[153:154], v[168:169], v[153:154]
	v_fma_f64 v[160:161], v[96:97], s[34:35], v[162:163]
	v_mul_f64 v[162:163], v[126:127], s[4:5]
	v_add_f64 v[151:152], v[248:249], v[151:152]
	v_fma_f64 v[166:167], v[60:61], s[38:39], -v[170:171]
	v_mul_f64 v[168:169], v[138:139], s[22:23]
	v_fma_f64 v[170:171], v[74:75], s[12:13], v[158:159]
	v_add_f64 v[146:147], v[186:187], v[174:175]
	v_add_f64 v[153:154], v[155:156], v[153:154]
	v_fma_f64 v[155:156], v[99:100], s[40:41], v[164:165]
	v_mul_f64 v[164:165], v[130:131], s[22:23]
	v_fma_f64 v[174:175], v[120:121], s[12:13], -v[162:163]
	v_add_f64 v[151:152], v[160:161], v[151:152]
	v_mul_f64 v[160:161], v[122:123], s[28:29]
	v_fma_f64 v[176:177], v[72:73], s[20:21], v[168:169]
	v_add_f64 v[170:171], v[250:251], v[170:171]
	v_fma_f64 v[172:173], v[84:85], s[24:25], v[172:173]
	v_mul_f64 v[186:187], v[128:129], s[28:29]
	v_fma_f64 v[188:189], v[96:97], s[20:21], -v[164:165]
	v_add_f64 v[174:175], v[248:249], v[174:175]
	v_add_f64 v[151:152], v[155:156], v[151:152]
	v_mul_f64 v[155:156], v[101:102], s[48:49]
	v_fma_f64 v[190:191], v[70:71], s[34:35], v[160:161]
	v_add_f64 v[170:171], v[176:177], v[170:171]
	v_mov_b32_e32 v28, v252
	v_mov_b32_e32 v29, v253
	v_mov_b32_e32 v30, v254
	v_mov_b32_e32 v31, v255
	v_mov_b32_e32 v255, v196
	v_fma_f64 v[176:177], v[76:77], s[12:13], v[178:179]
	v_mul_f64 v[178:179], v[124:125], s[48:49]
	v_mov_b32_e32 v254, v195
	v_mov_b32_e32 v253, v194
	;; [unrolled: 1-line block ×3, first 2 shown]
	v_fma_f64 v[192:193], v[99:100], s[34:35], -v[186:187]
	v_add_f64 v[174:175], v[188:189], v[174:175]
	v_add_f64 v[151:152], v[172:173], v[151:152]
	v_mul_f64 v[172:173], v[92:93], s[50:51]
	v_fma_f64 v[188:189], v[68:69], s[40:41], v[155:156]
	v_add_f64 v[170:171], v[190:191], v[170:171]
	v_fma_f64 v[180:181], v[136:137], s[0:1], v[180:181]
	v_mul_f64 v[190:191], v[94:95], s[50:51]
	v_fma_f64 v[194:195], v[84:85], s[40:41], -v[178:179]
	v_add_f64 v[174:175], v[192:193], v[174:175]
	v_add_f64 v[151:152], v[176:177], v[151:152]
	v_mul_f64 v[176:177], v[82:83], s[44:45]
	v_fma_f64 v[192:193], v[66:67], s[38:39], v[172:173]
	v_add_f64 v[170:171], v[188:189], v[170:171]
	v_fma_f64 v[158:159], v[74:75], s[12:13], -v[158:159]
	v_mov_b32_e32 v1, v197
	v_fma_f64 v[196:197], v[76:77], s[38:39], -v[190:191]
	v_add_f64 v[174:175], v[194:195], v[174:175]
	v_add_f64 v[151:152], v[180:181], v[151:152]
	v_mul_f64 v[180:181], v[80:81], s[36:37]
	v_fma_f64 v[194:195], v[64:65], s[24:25], v[176:177]
	v_add_f64 v[170:171], v[192:193], v[170:171]
	v_fma_f64 v[168:169], v[72:73], s[20:21], -v[168:169]
	v_add_f64 v[158:159], v[250:251], v[158:159]
	v_fma_f64 v[184:185], v[134:135], s[20:21], v[184:185]
	v_add_f64 v[174:175], v[196:197], v[174:175]
	v_fma_f64 v[160:161], v[70:71], s[34:35], -v[160:161]
	v_fma_f64 v[196:197], v[62:63], s[16:17], v[180:181]
	v_mov_b32_e32 v47, v3
	v_add_f64 v[170:171], v[194:195], v[170:171]
	v_mov_b32_e32 v46, v2
	v_add_f64 v[158:159], v[168:169], v[158:159]
	v_add_f64 v[151:152], v[184:185], v[151:152]
	v_mul_f64 v[184:185], v[2:3], s[30:31]
	v_add_f64 v[2:3], v[250:251], v[6:7]
	v_fma_f64 v[162:163], v[120:121], s[12:13], v[162:163]
	v_mul_f64 v[140:141], v[140:141], s[2:3]
	v_add_f64 v[170:171], v[196:197], v[170:171]
	v_mov_b32_e32 v197, v1
	v_add_f64 v[158:159], v[160:161], v[158:159]
	v_fma_f64 v[160:161], v[99:100], s[34:35], v[186:187]
	v_mov_b32_e32 v187, v157
	v_mov_b32_e32 v157, v0
	v_add_f64 v[0:1], v[248:249], v[4:5]
	v_add_f64 v[2:3], v[2:3], v[10:11]
	v_fma_f64 v[168:169], v[64:65], s[24:25], -v[176:177]
	v_fma_f64 v[164:165], v[96:97], s[20:21], v[164:165]
	v_add_f64 v[162:163], v[248:249], v[162:163]
	v_fma_f64 v[155:156], v[68:69], s[40:41], -v[155:156]
	v_mul_f64 v[138:139], v[138:139], s[4:5]
	v_fma_f64 v[176:177], v[74:75], s[0:1], v[140:141]
	v_add_f64 v[0:1], v[0:1], v[8:9]
	v_add_f64 v[2:3], v[2:3], v[18:19]
	v_fma_f64 v[172:173], v[66:67], s[38:39], -v[172:173]
	v_mul_f64 v[122:123], v[122:123], s[18:19]
	v_add_f64 v[162:163], v[164:165], v[162:163]
	v_add_f64 v[155:156], v[155:156], v[158:159]
	v_fma_f64 v[164:165], v[72:73], s[12:13], v[138:139]
	v_add_f64 v[176:177], v[250:251], v[176:177]
	v_add_f64 v[0:1], v[0:1], v[16:17]
	v_add_f64 v[2:3], v[2:3], v[14:15]
	v_fma_f64 v[158:159], v[84:85], s[40:41], v[178:179]
	v_mul_f64 v[101:102], v[101:102], s[22:23]
	v_add_f64 v[160:161], v[160:161], v[162:163]
	v_fma_f64 v[162:163], v[70:71], s[16:17], v[122:123]
	v_add_f64 v[155:156], v[172:173], v[155:156]
	v_add_f64 v[164:165], v[164:165], v[176:177]
	;; [unrolled: 1-line block ×4, first 2 shown]
	v_fma_f64 v[180:181], v[62:63], s[16:17], -v[180:181]
	v_mul_f64 v[6:7], v[92:93], s[26:27]
	v_add_f64 v[4:5], v[158:159], v[160:161]
	v_fma_f64 v[92:93], v[68:69], s[20:21], v[101:102]
	v_add_f64 v[155:156], v[168:169], v[155:156]
	v_add_f64 v[158:159], v[162:163], v[164:165]
	;; [unrolled: 1-line block ×5, first 2 shown]
	v_fma_f64 v[166:167], v[60:61], s[0:1], v[184:185]
	v_fma_f64 v[184:185], v[60:61], s[0:1], -v[184:185]
	v_mul_f64 v[8:9], v[82:83], s[28:29]
	v_mul_f64 v[12:13], v[126:127], s[2:3]
	v_add_f64 v[82:83], v[92:93], v[158:159]
	v_add_f64 v[0:1], v[0:1], v[86:87]
	;; [unrolled: 1-line block ×4, first 2 shown]
	v_mul_f64 v[188:189], v[90:91], s[44:45]
	v_mul_f64 v[18:19], v[90:91], s[28:29]
	v_fma_f64 v[74:75], v[74:75], s[0:1], -v[140:141]
	v_mul_f64 v[90:91], v[130:131], s[4:5]
	v_mul_f64 v[86:87], v[94:95], s[26:27]
	v_add_f64 v[0:1], v[0:1], v[24:25]
	v_add_f64 v[14:15], v[14:15], v[233:234]
	;; [unrolled: 1-line block ×3, first 2 shown]
	v_fma_f64 v[92:93], v[120:121], s[0:1], v[12:13]
	v_fma_f64 v[12:13], v[120:121], s[0:1], -v[12:13]
	v_mul_f64 v[94:95], v[128:129], s[18:19]
	v_fma_f64 v[72:73], v[72:73], s[12:13], -v[138:139]
	v_add_f64 v[74:75], v[250:251], v[74:75]
	v_add_f64 v[0:1], v[0:1], v[231:232]
	;; [unrolled: 1-line block ×3, first 2 shown]
	v_fma_f64 v[120:121], v[96:97], s[12:13], v[90:91]
	v_add_f64 v[92:93], v[248:249], v[92:93]
	v_fma_f64 v[90:91], v[96:97], s[12:13], -v[90:91]
	v_add_f64 v[12:13], v[248:249], v[12:13]
	v_mul_f64 v[88:89], v[124:125], s[22:23]
	v_fma_f64 v[70:71], v[70:71], s[16:17], -v[122:123]
	v_add_f64 v[0:1], v[0:1], v[236:237]
	v_add_f64 v[14:15], v[14:15], v[229:230]
	;; [unrolled: 1-line block ×3, first 2 shown]
	v_fma_f64 v[74:75], v[99:100], s[16:17], v[94:95]
	v_add_f64 v[92:93], v[120:121], v[92:93]
	v_fma_f64 v[94:95], v[99:100], s[16:17], -v[94:95]
	v_add_f64 v[12:13], v[90:91], v[12:13]
	v_fma_f64 v[10:11], v[66:67], s[24:25], v[6:7]
	v_add_f64 v[0:1], v[0:1], v[227:228]
	v_add_f64 v[14:15], v[14:15], v[225:226]
	v_fma_f64 v[68:69], v[68:69], s[20:21], -v[101:102]
	v_add_f64 v[70:71], v[70:71], v[72:73]
	v_fma_f64 v[72:73], v[84:85], s[20:21], v[88:89]
	v_add_f64 v[74:75], v[74:75], v[92:93]
	v_fma_f64 v[84:85], v[84:85], s[20:21], -v[88:89]
	v_add_f64 v[12:13], v[94:95], v[12:13]
	v_add_f64 v[0:1], v[0:1], v[223:224]
	v_fma_f64 v[172:173], v[76:77], s[38:39], v[190:191]
	v_add_f64 v[14:15], v[14:15], v[221:222]
	v_mul_f64 v[192:193], v[36:37], s[36:37]
	v_fma_f64 v[198:199], v[136:137], s[24:25], -v[188:189]
	v_mul_f64 v[16:17], v[80:81], s[42:43]
	v_fma_f64 v[80:81], v[64:65], s[34:35], v[8:9]
	v_add_f64 v[10:11], v[10:11], v[82:83]
	v_add_f64 v[0:1], v[0:1], v[219:220]
	v_fma_f64 v[6:7], v[66:67], s[24:25], -v[6:7]
	v_add_f64 v[66:67], v[68:69], v[70:71]
	v_fma_f64 v[68:69], v[76:77], s[24:25], v[86:87]
	v_add_f64 v[70:71], v[72:73], v[74:75]
	v_fma_f64 v[72:73], v[76:77], s[24:25], -v[86:87]
	v_add_f64 v[12:13], v[84:85], v[12:13]
	v_fma_f64 v[160:161], v[136:137], s[24:25], v[188:189]
	v_add_f64 v[4:5], v[172:173], v[4:5]
	v_add_f64 v[14:15], v[14:15], v[216:217]
	;; [unrolled: 1-line block ×3, first 2 shown]
	v_fma_f64 v[182:183], v[132:133], s[38:39], v[182:183]
	v_mul_f64 v[194:195], v[78:79], s[30:31]
	v_fma_f64 v[200:201], v[134:135], s[16:17], -v[192:193]
	v_add_f64 v[174:175], v[198:199], v[174:175]
	v_add_f64 v[10:11], v[80:81], v[10:11]
	v_mul_f64 v[80:81], v[36:37], s[42:43]
	v_fma_f64 v[8:9], v[64:65], s[34:35], -v[8:9]
	v_add_f64 v[6:7], v[6:7], v[66:67]
	v_fma_f64 v[64:65], v[136:137], s[34:35], v[18:19]
	v_add_f64 v[66:67], v[68:69], v[70:71]
	v_fma_f64 v[18:19], v[136:137], s[34:35], -v[18:19]
	v_add_f64 v[12:13], v[72:73], v[12:13]
	v_fma_f64 v[155:156], v[134:135], s[16:17], v[192:193]
	v_add_f64 v[4:5], v[160:161], v[4:5]
	v_add_f64 v[14:15], v[14:15], v[212:213]
	;; [unrolled: 1-line block ×4, first 2 shown]
	v_fma_f64 v[182:183], v[132:133], s[0:1], -v[194:195]
	v_add_f64 v[174:175], v[200:201], v[174:175]
	v_fma_f64 v[22:23], v[62:63], s[38:39], v[16:17]
	v_fma_f64 v[16:17], v[62:63], s[38:39], -v[16:17]
	v_add_f64 v[62:63], v[64:65], v[66:67]
	v_fma_f64 v[64:65], v[134:135], s[38:39], -v[80:81]
	v_add_f64 v[12:13], v[18:19], v[12:13]
	v_fma_f64 v[82:83], v[132:133], s[0:1], v[194:195]
	v_add_f64 v[20:21], v[155:156], v[4:5]
	v_add_f64 v[6:7], v[8:9], v[6:7]
	v_fma_f64 v[8:9], v[134:135], s[38:39], v[80:81]
	v_add_f64 v[14:15], v[14:15], v[208:209]
	v_add_f64 v[0:1], v[0:1], v[206:207]
	v_mov_b32_e32 v198, v218
	v_add_f64 v[64:65], v[64:65], v[12:13]
	v_add_f64 v[12:13], v[182:183], v[174:175]
	v_mov_b32_e32 v183, v240
	buffer_load_dword v219, off, s[60:63], 0 offset:772 ; 4-byte Folded Reload
	buffer_load_dword v220, off, s[60:63], 0 offset:776 ; 4-byte Folded Reload
	;; [unrolled: 1-line block ×16, first 2 shown]
	v_add_f64 v[62:63], v[8:9], v[62:63]
	v_add_f64 v[22:23], v[22:23], v[10:11]
	;; [unrolled: 1-line block ×4, first 2 shown]
	buffer_load_dword v203, off, s[60:63], 0 offset:708 ; 4-byte Folded Reload
	buffer_load_dword v204, off, s[60:63], 0 offset:712 ; 4-byte Folded Reload
	;; [unrolled: 1-line block ×8, first 2 shown]
	v_add_f64 v[0:1], v[82:83], v[20:21]
	v_mov_b32_e32 v184, v241
	v_mov_b32_e32 v185, v242
	;; [unrolled: 1-line block ×3, first 2 shown]
	buffer_load_dword v238, off, s[60:63], 0 offset:804 ; 4-byte Folded Reload
	buffer_load_dword v239, off, s[60:63], 0 offset:808 ; 4-byte Folded Reload
	;; [unrolled: 1-line block ×5, first 2 shown]
	v_mul_f64 v[4:5], v[46:47], s[48:49]
	v_mul_f64 v[78:79], v[78:79], s[48:49]
	v_add_f64 v[6:7], v[16:17], v[6:7]
	v_add_f64 v[14:15], v[166:167], v[170:171]
	v_mov_b32_e32 v189, v244
	v_mov_b32_e32 v190, v245
	;; [unrolled: 1-line block ×4, first 2 shown]
	v_fma_f64 v[18:19], v[60:61], s[40:41], -v[4:5]
	v_fma_f64 v[16:17], v[132:133], s[40:41], v[78:79]
	v_fma_f64 v[60:61], v[60:61], s[40:41], v[4:5]
	v_fma_f64 v[66:67], v[132:133], s[40:41], -v[78:79]
	v_mov_b32_e32 v245, v107
	v_mov_b32_e32 v244, v106
	;; [unrolled: 1-line block ×4, first 2 shown]
	v_add_f64 v[6:7], v[18:19], v[6:7]
	v_add_f64 v[4:5], v[16:17], v[62:63]
	;; [unrolled: 1-line block ×4, first 2 shown]
	v_mov_b32_e32 v104, v108
	v_mov_b32_e32 v105, v109
	;; [unrolled: 1-line block ×23, first 2 shown]
	v_add_u32_e32 v223, 0x220, v103
	v_mov_b32_e32 v176, v44
	v_mov_b32_e32 v175, v43
	;; [unrolled: 1-line block ×9, first 2 shown]
	s_waitcnt vmcnt(0)
	v_lshl_add_u32 v20, v20, 4, v98
	v_mov_b32_e32 v98, v235
	buffer_load_dword v234, off, s[60:63], 0 offset:788 ; 4-byte Folded Reload
	buffer_load_dword v235, off, s[60:63], 0 offset:792 ; 4-byte Folded Reload
	;; [unrolled: 1-line block ×4, first 2 shown]
	ds_write_b128 v20, v[8:11]
	ds_write_b128 v20, v[4:7] offset:16
	ds_write_b128 v20, v[0:3] offset:32
	ds_write_b128 v20, v[151:154] offset:48
	ds_write_b128 v20, v[142:145] offset:64
	ds_write_b128 v20, v[52:55] offset:80
	buffer_load_dword v0, off, s[60:63], 0 offset:908 ; 4-byte Folded Reload
	buffer_load_dword v1, off, s[60:63], 0 offset:912 ; 4-byte Folded Reload
	buffer_load_dword v2, off, s[60:63], 0 offset:916 ; 4-byte Folded Reload
	buffer_load_dword v3, off, s[60:63], 0 offset:920 ; 4-byte Folded Reload
	s_waitcnt vmcnt(0)
	ds_write_b128 v20, v[0:3] offset:96
	buffer_load_dword v0, off, s[60:63], 0 offset:876 ; 4-byte Folded Reload
	buffer_load_dword v1, off, s[60:63], 0 offset:880 ; 4-byte Folded Reload
	buffer_load_dword v2, off, s[60:63], 0 offset:884 ; 4-byte Folded Reload
	buffer_load_dword v3, off, s[60:63], 0 offset:888 ; 4-byte Folded Reload
	s_waitcnt vmcnt(0)
	ds_write_b128 v20, v[0:3] offset:112
	;; [unrolled: 6-line block ×6, first 2 shown]
	ds_write_b128 v20, v[48:51] offset:192
	ds_write_b128 v20, v[56:59] offset:208
	;; [unrolled: 1-line block ×3, first 2 shown]
	buffer_load_dword v149, off, s[60:63], 0 offset:820 ; 4-byte Folded Reload
	ds_write_b128 v20, v[12:15] offset:240
	ds_write_b128 v20, v[16:19] offset:256
.LBB0_13:
	s_or_b64 exec, exec, s[58:59]
	s_waitcnt lgkmcnt(0)
	; wave barrier
	s_waitcnt lgkmcnt(0)
	ds_read_b128 v[4:7], v103 offset:1360
	ds_read_b128 v[0:3], v103 offset:1088
	ds_read_b128 v[8:11], v103 offset:1632
	ds_read_b128 v[12:15], v103 offset:1904
	s_mov_b32 s16, 0x134454ff
	s_waitcnt lgkmcnt(3)
	v_mul_f64 v[16:17], v[118:119], v[6:7]
	v_mul_f64 v[20:21], v[118:119], v[4:5]
	s_waitcnt lgkmcnt(1)
	v_mul_f64 v[22:23], v[118:119], v[10:11]
	v_mul_f64 v[24:25], v[118:119], v[8:9]
	s_mov_b32 s17, 0xbfee6f0e
	s_mov_b32 s13, 0x3fee6f0e
	;; [unrolled: 1-line block ×4, first 2 shown]
	v_fma_f64 v[46:47], v[116:117], v[4:5], v[16:17]
	ds_read_b128 v[16:19], v103 offset:2720
	v_fma_f64 v[62:63], v[116:117], v[8:9], v[22:23]
	v_fma_f64 v[64:65], v[116:117], v[10:11], -v[24:25]
	v_fma_f64 v[48:49], v[116:117], v[6:7], -v[20:21]
	ds_read_b128 v[4:7], v103 offset:2992
	s_waitcnt lgkmcnt(1)
	v_mul_f64 v[8:9], v[114:115], v[18:19]
	v_mul_f64 v[10:11], v[114:115], v[16:17]
	s_mov_b32 s1, 0xbfe2cf23
	s_mov_b32 s5, 0x3fe2cf23
	;; [unrolled: 1-line block ×5, first 2 shown]
	v_fma_f64 v[50:51], v[112:113], v[16:17], v[8:9]
	v_fma_f64 v[52:53], v[112:113], v[18:19], -v[10:11]
	ds_read_b128 v[8:11], v103 offset:4080
	s_waitcnt lgkmcnt(1)
	v_mul_f64 v[20:21], v[114:115], v[6:7]
	v_mul_f64 v[22:23], v[114:115], v[4:5]
	s_waitcnt lgkmcnt(0)
	v_mul_f64 v[16:17], v[110:111], v[10:11]
	v_mul_f64 v[18:19], v[110:111], v[8:9]
	v_fma_f64 v[66:67], v[112:113], v[4:5], v[20:21]
	v_fma_f64 v[68:69], v[112:113], v[6:7], -v[22:23]
	ds_read_b128 v[4:7], v103 offset:3808
	v_fma_f64 v[54:55], v[108:109], v[8:9], v[16:17]
	v_fma_f64 v[56:57], v[108:109], v[10:11], -v[18:19]
	ds_read_b128 v[8:11], v103 offset:4352
	ds_read_b128 v[16:19], v103 offset:4624
	s_waitcnt lgkmcnt(1)
	v_mul_f64 v[20:21], v[110:111], v[10:11]
	v_add_f64 v[112:113], v[50:51], -v[54:55]
	v_add_f64 v[82:83], v[52:53], -v[56:57]
	v_fma_f64 v[70:71], v[108:109], v[8:9], v[20:21]
	v_mul_f64 v[8:9], v[110:111], v[8:9]
	v_fma_f64 v[72:73], v[108:109], v[10:11], -v[8:9]
	ds_read_b128 v[8:11], v103 offset:5440
	ds_read_b128 v[20:23], v103 offset:5712
	s_waitcnt lgkmcnt(1)
	v_mul_f64 v[24:25], v[106:107], v[10:11]
	v_fma_f64 v[58:59], v[104:105], v[8:9], v[24:25]
	v_mul_f64 v[8:9], v[106:107], v[8:9]
	v_add_f64 v[110:111], v[46:47], -v[58:59]
	v_fma_f64 v[60:61], v[104:105], v[10:11], -v[8:9]
	s_waitcnt lgkmcnt(0)
	v_mul_f64 v[8:9], v[106:107], v[22:23]
	v_add_f64 v[80:81], v[48:49], -v[60:61]
	v_fma_f64 v[74:75], v[104:105], v[20:21], v[8:9]
	v_mul_f64 v[8:9], v[106:107], v[20:21]
	v_fma_f64 v[76:77], v[104:105], v[22:23], -v[8:9]
	v_mul_f64 v[8:9], v[195:196], v[14:15]
	v_fma_f64 v[86:87], v[193:194], v[12:13], v[8:9]
	v_mul_f64 v[8:9], v[195:196], v[12:13]
	v_fma_f64 v[88:89], v[193:194], v[14:15], -v[8:9]
	ds_read_b128 v[8:11], v103 offset:3264
	ds_read_b128 v[12:15], v103 offset:3536
	s_waitcnt lgkmcnt(1)
	v_mul_f64 v[20:21], v[191:192], v[10:11]
	v_fma_f64 v[90:91], v[189:190], v[8:9], v[20:21]
	v_mul_f64 v[8:9], v[191:192], v[8:9]
	v_fma_f64 v[92:93], v[189:190], v[10:11], -v[8:9]
	v_mul_f64 v[8:9], v[185:186], v[18:19]
	v_fma_f64 v[94:95], v[183:184], v[16:17], v[8:9]
	v_mul_f64 v[8:9], v[185:186], v[16:17]
	v_add_f64 v[120:121], v[90:91], -v[94:95]
	v_fma_f64 v[96:97], v[183:184], v[18:19], -v[8:9]
	ds_read_b128 v[8:11], v103 offset:5984
	ds_read_b128 v[16:19], v103 offset:6256
	s_waitcnt lgkmcnt(1)
	v_mul_f64 v[20:21], v[181:182], v[10:11]
	v_add_f64 v[114:115], v[92:93], -v[96:97]
	v_fma_f64 v[99:100], v[179:180], v[8:9], v[20:21]
	v_mul_f64 v[8:9], v[181:182], v[8:9]
	v_add_f64 v[118:119], v[86:87], -v[99:100]
	v_fma_f64 v[101:102], v[179:180], v[10:11], -v[8:9]
	ds_read_b128 v[8:11], v103 offset:2176
	ds_read_b128 v[20:23], v103 offset:2448
	s_waitcnt lgkmcnt(1)
	v_mul_f64 v[24:25], v[213:214], v[10:11]
	v_fma_f64 v[32:33], v[211:212], v[8:9], v[24:25]
	v_mul_f64 v[8:9], v[213:214], v[8:9]
	v_fma_f64 v[28:29], v[211:212], v[10:11], -v[8:9]
	v_mul_f64 v[8:9], v[209:210], v[14:15]
	v_fma_f64 v[36:37], v[207:208], v[12:13], v[8:9]
	v_mul_f64 v[8:9], v[209:210], v[12:13]
	v_fma_f64 v[30:31], v[207:208], v[14:15], -v[8:9]
	ds_read_b128 v[8:11], v103 offset:4896
	ds_read_b128 v[24:27], v103 offset:5168
	s_waitcnt lgkmcnt(1)
	v_mul_f64 v[12:13], v[205:206], v[10:11]
	v_fma_f64 v[104:105], v[203:204], v[8:9], v[12:13]
	v_mul_f64 v[8:9], v[205:206], v[8:9]
	v_fma_f64 v[34:35], v[203:204], v[10:11], -v[8:9]
	v_mul_f64 v[8:9], v[201:202], v[18:19]
	v_fma_f64 v[106:107], v[199:200], v[16:17], v[8:9]
	v_mul_f64 v[8:9], v[201:202], v[16:17]
	v_fma_f64 v[108:109], v[199:200], v[18:19], -v[8:9]
	;; [unrolled: 4-line block ×4, first 2 shown]
	s_waitcnt lgkmcnt(0)
	v_mul_f64 v[4:5], v[221:222], v[26:27]
	v_mul_f64 v[6:7], v[221:222], v[24:25]
	v_fma_f64 v[22:23], v[219:220], v[24:25], v[4:5]
	v_fma_f64 v[18:19], v[219:220], v[26:27], -v[6:7]
	ds_read_b128 v[4:7], v103 offset:6528
	ds_read_b128 v[38:41], v103
	ds_read_b128 v[42:45], v103 offset:272
	s_waitcnt lgkmcnt(2)
	v_mul_f64 v[8:9], v[217:218], v[6:7]
	v_mul_f64 v[10:11], v[217:218], v[4:5]
	v_fma_f64 v[26:27], v[215:216], v[4:5], v[8:9]
	v_fma_f64 v[24:25], v[215:216], v[6:7], -v[10:11]
	v_add_f64 v[4:5], v[46:47], -v[50:51]
	v_add_f64 v[6:7], v[58:59], -v[54:55]
	v_add_f64 v[8:9], v[48:49], -v[52:53]
	v_add_f64 v[10:11], v[60:61], -v[56:57]
	v_add_f64 v[4:5], v[4:5], v[6:7]
	v_add_f64 v[6:7], v[50:51], v[54:55]
	;; [unrolled: 1-line block ×4, first 2 shown]
	s_waitcnt lgkmcnt(1)
	v_fma_f64 v[6:7], v[6:7], -0.5, v[38:39]
	v_fma_f64 v[84:85], v[10:11], -0.5, v[40:41]
	v_fma_f64 v[8:9], v[80:81], s[16:17], v[6:7]
	v_fma_f64 v[6:7], v[80:81], s[12:13], v[6:7]
	;; [unrolled: 1-line block ×12, first 2 shown]
	v_add_f64 v[78:79], v[46:47], v[58:59]
	v_add_f64 v[84:85], v[48:49], v[60:61]
	v_fma_f64 v[78:79], v[78:79], -0.5, v[38:39]
	v_add_f64 v[38:39], v[38:39], v[46:47]
	v_fma_f64 v[84:85], v[84:85], -0.5, v[40:41]
	v_add_f64 v[40:41], v[40:41], v[48:49]
	v_add_f64 v[46:47], v[50:51], -v[46:47]
	v_add_f64 v[48:49], v[52:53], -v[48:49]
	v_add_f64 v[38:39], v[38:39], v[50:51]
	v_fma_f64 v[50:51], v[82:83], s[12:13], v[78:79]
	v_add_f64 v[40:41], v[40:41], v[52:53]
	v_fma_f64 v[78:79], v[82:83], s[16:17], v[78:79]
	v_add_f64 v[52:53], v[56:57], -v[60:61]
	v_add_f64 v[82:83], v[68:69], -v[72:73]
	v_add_f64 v[38:39], v[38:39], v[54:55]
	v_add_f64 v[54:55], v[54:55], -v[58:59]
	v_add_f64 v[40:41], v[40:41], v[56:57]
	v_fma_f64 v[56:57], v[112:113], s[16:17], v[84:85]
	v_add_f64 v[52:53], v[48:49], v[52:53]
	v_add_f64 v[38:39], v[38:39], v[58:59]
	v_fma_f64 v[58:59], v[112:113], s[12:13], v[84:85]
	v_add_f64 v[54:55], v[46:47], v[54:55]
	v_fma_f64 v[46:47], v[80:81], s[0:1], v[50:51]
	v_fma_f64 v[50:51], v[80:81], s[4:5], v[78:79]
	;; [unrolled: 1-line block ×3, first 2 shown]
	v_add_f64 v[40:41], v[40:41], v[60:61]
	v_add_f64 v[80:81], v[64:65], -v[76:77]
	v_add_f64 v[112:113], v[66:67], -v[70:71]
	v_fma_f64 v[56:57], v[110:111], s[0:1], v[58:59]
	v_add_f64 v[110:111], v[62:63], -v[74:75]
	v_fma_f64 v[46:47], v[54:55], s[2:3], v[46:47]
	v_fma_f64 v[50:51], v[54:55], s[2:3], v[50:51]
	;; [unrolled: 1-line block ×3, first 2 shown]
	v_add_f64 v[54:55], v[62:63], -v[66:67]
	v_fma_f64 v[52:53], v[52:53], s[2:3], v[56:57]
	v_add_f64 v[56:57], v[74:75], -v[70:71]
	v_add_f64 v[58:59], v[54:55], v[56:57]
	v_add_f64 v[54:55], v[64:65], -v[68:69]
	v_add_f64 v[56:57], v[76:77], -v[72:73]
	v_add_f64 v[60:61], v[54:55], v[56:57]
	v_add_f64 v[54:55], v[66:67], v[70:71]
	v_add_f64 v[56:57], v[68:69], v[72:73]
	s_waitcnt lgkmcnt(0)
	v_fma_f64 v[78:79], v[54:55], -0.5, v[42:43]
	v_fma_f64 v[84:85], v[56:57], -0.5, v[44:45]
	v_fma_f64 v[54:55], v[80:81], s[16:17], v[78:79]
	v_fma_f64 v[78:79], v[80:81], s[12:13], v[78:79]
	;; [unrolled: 1-line block ×10, first 2 shown]
	v_add_f64 v[78:79], v[62:63], v[74:75]
	v_fma_f64 v[56:57], v[60:61], s[2:3], v[56:57]
	v_fma_f64 v[60:61], v[60:61], s[2:3], v[84:85]
	v_add_f64 v[84:85], v[64:65], v[76:77]
	v_fma_f64 v[78:79], v[78:79], -0.5, v[42:43]
	v_add_f64 v[42:43], v[42:43], v[62:63]
	v_add_f64 v[62:63], v[66:67], -v[62:63]
	v_fma_f64 v[84:85], v[84:85], -0.5, v[44:45]
	v_add_f64 v[44:45], v[44:45], v[64:65]
	v_add_f64 v[64:65], v[68:69], -v[64:65]
	v_add_f64 v[42:43], v[42:43], v[66:67]
	v_fma_f64 v[66:67], v[82:83], s[12:13], v[78:79]
	v_fma_f64 v[78:79], v[82:83], s[16:17], v[78:79]
	v_add_f64 v[44:45], v[44:45], v[68:69]
	v_add_f64 v[68:69], v[72:73], -v[76:77]
	v_add_f64 v[42:43], v[42:43], v[70:71]
	v_add_f64 v[70:71], v[70:71], -v[74:75]
	v_add_f64 v[44:45], v[44:45], v[72:73]
	v_fma_f64 v[72:73], v[112:113], s[16:17], v[84:85]
	v_add_f64 v[68:69], v[64:65], v[68:69]
	v_add_f64 v[42:43], v[42:43], v[74:75]
	v_fma_f64 v[74:75], v[112:113], s[12:13], v[84:85]
	v_add_f64 v[70:71], v[62:63], v[70:71]
	v_fma_f64 v[62:63], v[80:81], s[0:1], v[66:67]
	v_fma_f64 v[66:67], v[80:81], s[4:5], v[78:79]
	;; [unrolled: 1-line block ×3, first 2 shown]
	v_add_f64 v[78:79], v[90:91], v[94:95]
	v_add_f64 v[44:45], v[44:45], v[76:77]
	v_add_f64 v[112:113], v[88:89], -v[101:102]
	v_fma_f64 v[72:73], v[110:111], s[0:1], v[74:75]
	v_add_f64 v[80:81], v[92:93], v[96:97]
	v_fma_f64 v[62:63], v[70:71], s[2:3], v[62:63]
	v_fma_f64 v[66:67], v[70:71], s[2:3], v[66:67]
	v_fma_f64 v[64:65], v[68:69], s[2:3], v[64:65]
	v_add_f64 v[70:71], v[86:87], -v[90:91]
	v_fma_f64 v[68:69], v[68:69], s[2:3], v[72:73]
	v_add_f64 v[72:73], v[99:100], -v[94:95]
	v_add_f64 v[82:83], v[70:71], v[72:73]
	v_add_f64 v[70:71], v[88:89], -v[92:93]
	v_add_f64 v[72:73], v[101:102], -v[96:97]
	v_add_f64 v[84:85], v[70:71], v[72:73]
	ds_read_b128 v[70:73], v103 offset:544
	ds_read_b128 v[74:77], v103 offset:816
	s_waitcnt lgkmcnt(0)
	; wave barrier
	s_waitcnt lgkmcnt(0)
	v_fma_f64 v[110:111], v[78:79], -0.5, v[70:71]
	v_fma_f64 v[116:117], v[80:81], -0.5, v[72:73]
	v_fma_f64 v[78:79], v[112:113], s[16:17], v[110:111]
	v_fma_f64 v[110:111], v[112:113], s[12:13], v[110:111]
	;; [unrolled: 1-line block ×10, first 2 shown]
	v_add_f64 v[110:111], v[86:87], v[99:100]
	v_fma_f64 v[80:81], v[84:85], s[2:3], v[80:81]
	v_fma_f64 v[84:85], v[84:85], s[2:3], v[116:117]
	v_add_f64 v[116:117], v[88:89], v[101:102]
	v_fma_f64 v[110:111], v[110:111], -0.5, v[70:71]
	v_add_f64 v[70:71], v[70:71], v[86:87]
	v_add_f64 v[86:87], v[90:91], -v[86:87]
	v_fma_f64 v[116:117], v[116:117], -0.5, v[72:73]
	v_add_f64 v[72:73], v[72:73], v[88:89]
	v_add_f64 v[88:89], v[92:93], -v[88:89]
	v_add_f64 v[70:71], v[70:71], v[90:91]
	v_fma_f64 v[90:91], v[114:115], s[12:13], v[110:111]
	v_fma_f64 v[110:111], v[114:115], s[16:17], v[110:111]
	v_add_f64 v[72:73], v[72:73], v[92:93]
	v_add_f64 v[92:93], v[96:97], -v[101:102]
	v_add_f64 v[114:115], v[30:31], -v[34:35]
	v_add_f64 v[70:71], v[70:71], v[94:95]
	v_add_f64 v[94:95], v[94:95], -v[99:100]
	v_add_f64 v[72:73], v[72:73], v[96:97]
	v_fma_f64 v[96:97], v[120:121], s[16:17], v[116:117]
	v_add_f64 v[92:93], v[88:89], v[92:93]
	v_add_f64 v[70:71], v[70:71], v[99:100]
	v_fma_f64 v[99:100], v[120:121], s[12:13], v[116:117]
	v_add_f64 v[94:95], v[86:87], v[94:95]
	v_fma_f64 v[86:87], v[112:113], s[0:1], v[90:91]
	v_fma_f64 v[90:91], v[112:113], s[4:5], v[110:111]
	;; [unrolled: 1-line block ×3, first 2 shown]
	v_add_f64 v[72:73], v[72:73], v[101:102]
	v_add_f64 v[112:113], v[28:29], -v[108:109]
	v_add_f64 v[120:121], v[36:37], -v[104:105]
	v_fma_f64 v[96:97], v[118:119], s[0:1], v[99:100]
	v_add_f64 v[118:119], v[32:33], -v[106:107]
	v_fma_f64 v[86:87], v[94:95], s[2:3], v[86:87]
	v_fma_f64 v[90:91], v[94:95], s[2:3], v[90:91]
	;; [unrolled: 1-line block ×3, first 2 shown]
	v_add_f64 v[94:95], v[32:33], -v[36:37]
	v_fma_f64 v[92:93], v[92:93], s[2:3], v[96:97]
	v_add_f64 v[96:97], v[106:107], -v[104:105]
	v_add_f64 v[99:100], v[94:95], v[96:97]
	v_add_f64 v[94:95], v[28:29], -v[30:31]
	v_add_f64 v[96:97], v[108:109], -v[34:35]
	v_add_f64 v[101:102], v[94:95], v[96:97]
	v_add_f64 v[94:95], v[36:37], v[104:105]
	;; [unrolled: 1-line block ×3, first 2 shown]
	v_fma_f64 v[110:111], v[94:95], -0.5, v[74:75]
	v_fma_f64 v[116:117], v[96:97], -0.5, v[76:77]
	v_fma_f64 v[94:95], v[112:113], s[16:17], v[110:111]
	v_fma_f64 v[110:111], v[112:113], s[12:13], v[110:111]
	;; [unrolled: 1-line block ×10, first 2 shown]
	v_add_f64 v[110:111], v[32:33], v[106:107]
	v_fma_f64 v[96:97], v[101:102], s[2:3], v[96:97]
	v_fma_f64 v[101:102], v[101:102], s[2:3], v[116:117]
	v_add_f64 v[116:117], v[28:29], v[108:109]
	v_fma_f64 v[110:111], v[110:111], -0.5, v[74:75]
	v_add_f64 v[74:75], v[74:75], v[32:33]
	v_add_f64 v[32:33], v[36:37], -v[32:33]
	v_fma_f64 v[116:117], v[116:117], -0.5, v[76:77]
	v_add_f64 v[76:77], v[76:77], v[28:29]
	v_add_f64 v[28:29], v[30:31], -v[28:29]
	v_add_f64 v[74:75], v[74:75], v[36:37]
	v_fma_f64 v[36:37], v[114:115], s[12:13], v[110:111]
	v_fma_f64 v[110:111], v[114:115], s[16:17], v[110:111]
	v_add_f64 v[76:77], v[76:77], v[30:31]
	v_add_f64 v[30:31], v[34:35], -v[108:109]
	v_add_f64 v[114:115], v[14:15], -v[18:19]
	v_add_f64 v[74:75], v[74:75], v[104:105]
	v_add_f64 v[104:105], v[104:105], -v[106:107]
	v_fma_f64 v[36:37], v[112:113], s[0:1], v[36:37]
	v_add_f64 v[76:77], v[76:77], v[34:35]
	v_fma_f64 v[34:35], v[120:121], s[16:17], v[116:117]
	v_add_f64 v[74:75], v[74:75], v[106:107]
	v_add_f64 v[32:33], v[32:33], v[104:105]
	v_fma_f64 v[104:105], v[112:113], s[4:5], v[110:111]
	v_add_f64 v[76:77], v[76:77], v[108:109]
	v_fma_f64 v[106:107], v[120:121], s[12:13], v[116:117]
	;; [unrolled: 2-line block ×3, first 2 shown]
	v_add_f64 v[112:113], v[12:13], -v[24:25]
	v_add_f64 v[120:121], v[20:21], -v[22:23]
	v_fma_f64 v[28:29], v[32:33], s[2:3], v[36:37]
	v_fma_f64 v[32:33], v[32:33], s[2:3], v[104:105]
	v_add_f64 v[36:37], v[16:17], -v[20:21]
	v_add_f64 v[104:105], v[26:27], -v[22:23]
	v_fma_f64 v[34:35], v[118:119], s[0:1], v[106:107]
	v_add_f64 v[106:107], v[24:25], -v[18:19]
	v_add_f64 v[118:119], v[16:17], -v[26:27]
	v_fma_f64 v[30:31], v[108:109], s[2:3], v[30:31]
	v_add_f64 v[36:37], v[36:37], v[104:105]
	v_add_f64 v[104:105], v[12:13], -v[14:15]
	v_fma_f64 v[34:35], v[108:109], s[2:3], v[34:35]
	v_add_f64 v[110:111], v[104:105], v[106:107]
	v_add_f64 v[106:107], v[14:15], v[18:19]
	;; [unrolled: 1-line block ×3, first 2 shown]
	v_fma_f64 v[116:117], v[106:107], -0.5, v[2:3]
	v_fma_f64 v[108:109], v[104:105], -0.5, v[0:1]
	v_fma_f64 v[106:107], v[118:119], s[12:13], v[116:117]
	v_fma_f64 v[116:117], v[118:119], s[16:17], v[116:117]
	;; [unrolled: 1-line block ×10, first 2 shown]
	v_add_f64 v[116:117], v[12:13], v[24:25]
	v_fma_f64 v[104:105], v[36:37], s[2:3], v[104:105]
	v_fma_f64 v[108:109], v[36:37], s[2:3], v[108:109]
	v_add_f64 v[36:37], v[16:17], v[26:27]
	v_fma_f64 v[116:117], v[116:117], -0.5, v[2:3]
	v_add_f64 v[2:3], v[2:3], v[12:13]
	v_add_f64 v[12:13], v[14:15], -v[12:13]
	v_fma_f64 v[36:37], v[36:37], -0.5, v[0:1]
	v_add_f64 v[0:1], v[0:1], v[16:17]
	v_add_f64 v[16:17], v[20:21], -v[16:17]
	v_add_f64 v[2:3], v[2:3], v[14:15]
	v_add_f64 v[14:15], v[18:19], -v[24:25]
	v_add_f64 v[0:1], v[0:1], v[20:21]
	v_fma_f64 v[20:21], v[114:115], s[12:13], v[36:37]
	v_fma_f64 v[36:37], v[114:115], s[16:17], v[36:37]
	v_add_f64 v[2:3], v[2:3], v[18:19]
	v_fma_f64 v[18:19], v[120:121], s[16:17], v[116:117]
	v_add_f64 v[0:1], v[0:1], v[22:23]
	v_add_f64 v[22:23], v[22:23], -v[26:27]
	v_fma_f64 v[20:21], v[112:113], s[0:1], v[20:21]
	v_add_f64 v[2:3], v[2:3], v[24:25]
	v_fma_f64 v[24:25], v[120:121], s[12:13], v[116:117]
	v_add_f64 v[0:1], v[0:1], v[26:27]
	v_add_f64 v[16:17], v[16:17], v[22:23]
	v_fma_f64 v[22:23], v[112:113], s[4:5], v[36:37]
	v_add_f64 v[26:27], v[12:13], v[14:15]
	v_fma_f64 v[14:15], v[118:119], s[4:5], v[18:19]
	v_fma_f64 v[18:19], v[118:119], s[0:1], v[24:25]
	;; [unrolled: 1-line block ×6, first 2 shown]
	ds_write_b128 v103, v[38:41]
	ds_write_b128 v103, v[8:11] offset:272
	ds_write_b128 v103, v[46:49] offset:544
	;; [unrolled: 1-line block ×14, first 2 shown]
	s_waitcnt vmcnt(0)
	ds_write_b128 v149, v[74:77] offset:4080
	ds_write_b128 v149, v[94:97] offset:4352
	;; [unrolled: 1-line block ×10, first 2 shown]
	s_waitcnt lgkmcnt(0)
	; wave barrier
	s_waitcnt lgkmcnt(0)
	ds_read_b128 v[16:19], v103 offset:1360
	ds_read_b128 v[20:23], v103 offset:4080
	ds_read_b128 v[24:27], v103
	ds_read_b128 v[12:15], v103 offset:272
	ds_read_b128 v[28:31], v103 offset:2720
	;; [unrolled: 1-line block ×14, first 2 shown]
	buffer_load_dword v94, off, s[60:63], 0 offset:400 ; 4-byte Folded Reload
	buffer_load_dword v95, off, s[60:63], 0 offset:404 ; 4-byte Folded Reload
	;; [unrolled: 1-line block ×4, first 2 shown]
	ds_read_b128 v[68:71], v103 offset:5984
	ds_read_b128 v[72:75], v103 offset:6256
	;; [unrolled: 1-line block ×3, first 2 shown]
	s_waitcnt lgkmcnt(14)
	v_mul_f64 v[84:85], v[254:255], v[30:31]
	v_mul_f64 v[86:87], v[254:255], v[28:29]
	;; [unrolled: 1-line block ×4, first 2 shown]
	v_fma_f64 v[99:100], v[252:253], v[30:31], -v[86:87]
	s_waitcnt lgkmcnt(13)
	v_mul_f64 v[86:87], v[176:177], v[36:37]
	v_fma_f64 v[88:89], v[242:243], v[20:21], v[88:89]
	v_fma_f64 v[90:91], v[242:243], v[22:23], -v[90:91]
	v_fma_f64 v[112:113], v[174:175], v[38:39], -v[86:87]
	s_waitcnt vmcnt(0)
	v_mul_f64 v[80:81], v[96:97], v[18:19]
	v_mul_f64 v[82:83], v[96:97], v[16:17]
	v_fma_f64 v[96:97], v[252:253], v[28:29], v[84:85]
	v_mul_f64 v[84:85], v[176:177], v[38:39]
	v_fma_f64 v[92:93], v[94:95], v[16:17], v[80:81]
	v_fma_f64 v[94:95], v[94:95], v[18:19], -v[82:83]
	ds_read_b128 v[16:19], v103 offset:2176
	ds_read_b128 v[80:83], v103 offset:2448
	buffer_load_dword v118, off, s[60:63], 0 offset:464 ; 4-byte Folded Reload
	buffer_load_dword v119, off, s[60:63], 0 offset:468 ; 4-byte Folded Reload
	;; [unrolled: 1-line block ×8, first 2 shown]
	ds_read_b128 v[20:23], v103 offset:4896
	ds_read_b128 v[28:31], v103 offset:5168
	v_fma_f64 v[110:111], v[174:175], v[36:37], v[84:85]
	ds_read_b128 v[84:87], v103 offset:6528
	s_waitcnt vmcnt(4) lgkmcnt(14)
	v_mul_f64 v[101:102], v[120:121], v[46:47]
	v_mul_f64 v[104:105], v[120:121], v[44:45]
	s_waitcnt vmcnt(0)
	v_mul_f64 v[106:107], v[116:117], v[34:35]
	v_mul_f64 v[108:109], v[116:117], v[32:33]
	v_fma_f64 v[101:102], v[118:119], v[44:45], v[101:102]
	v_fma_f64 v[104:105], v[118:119], v[46:47], -v[104:105]
	buffer_load_dword v118, off, s[60:63], 0 offset:432 ; 4-byte Folded Reload
	buffer_load_dword v119, off, s[60:63], 0 offset:436 ; 4-byte Folded Reload
	;; [unrolled: 1-line block ×12, first 2 shown]
	v_fma_f64 v[106:107], v[114:115], v[32:33], v[106:107]
	v_fma_f64 v[108:109], v[114:115], v[34:35], -v[108:109]
	s_waitcnt vmcnt(8)
	v_mul_f64 v[32:33], v[120:121], v[54:55]
	v_mul_f64 v[34:35], v[120:121], v[52:53]
	s_waitcnt vmcnt(0)
	v_mul_f64 v[44:45], v[128:129], v[50:51]
	v_mul_f64 v[46:47], v[128:129], v[48:49]
	buffer_load_dword v128, off, s[60:63], 0 offset:512 ; 4-byte Folded Reload
	buffer_load_dword v129, off, s[60:63], 0 offset:516 ; 4-byte Folded Reload
	buffer_load_dword v130, off, s[60:63], 0 offset:520 ; 4-byte Folded Reload
	buffer_load_dword v131, off, s[60:63], 0 offset:524 ; 4-byte Folded Reload
	v_mul_f64 v[36:37], v[124:125], v[42:43]
	v_mul_f64 v[38:39], v[124:125], v[40:41]
	v_fma_f64 v[116:117], v[118:119], v[52:53], v[32:33]
	v_fma_f64 v[118:119], v[118:119], v[54:55], -v[34:35]
	v_fma_f64 v[124:125], v[126:127], v[48:49], v[44:45]
	v_fma_f64 v[126:127], v[126:127], v[50:51], -v[46:47]
	buffer_load_dword v50, off, s[60:63], 0 offset:496 ; 4-byte Folded Reload
	buffer_load_dword v51, off, s[60:63], 0 offset:500 ; 4-byte Folded Reload
	;; [unrolled: 1-line block ×8, first 2 shown]
	v_fma_f64 v[120:121], v[122:123], v[40:41], v[36:37]
	v_fma_f64 v[122:123], v[122:123], v[42:43], -v[38:39]
	s_waitcnt vmcnt(8) lgkmcnt(10)
	v_mul_f64 v[114:115], v[130:131], v[62:63]
	v_mul_f64 v[32:33], v[130:131], v[60:61]
	v_fma_f64 v[114:115], v[128:129], v[60:61], v[114:115]
	s_waitcnt vmcnt(4)
	v_mul_f64 v[34:35], v[52:53], v[58:59]
	v_fma_f64 v[128:129], v[128:129], v[62:63], -v[32:33]
	v_mul_f64 v[32:33], v[52:53], v[56:57]
	buffer_load_dword v52, off, s[60:63], 0 offset:592 ; 4-byte Folded Reload
	buffer_load_dword v53, off, s[60:63], 0 offset:596 ; 4-byte Folded Reload
	;; [unrolled: 1-line block ×8, first 2 shown]
	s_waitcnt vmcnt(8) lgkmcnt(7)
	v_mul_f64 v[36:37], v[48:49], v[70:71]
	v_mul_f64 v[38:39], v[48:49], v[68:69]
	v_fma_f64 v[130:131], v[50:51], v[56:57], v[34:35]
	v_fma_f64 v[132:133], v[50:51], v[58:59], -v[32:33]
	v_add_f64 v[58:59], v[92:93], v[110:111]
	v_fma_f64 v[134:135], v[46:47], v[68:69], v[36:37]
	v_fma_f64 v[136:137], v[46:47], v[70:71], -v[38:39]
	v_add_f64 v[68:69], v[90:91], -v[112:113]
	v_add_f64 v[70:71], v[12:13], v[101:102]
	v_add_f64 v[70:71], v[70:71], v[106:107]
	s_waitcnt vmcnt(4) lgkmcnt(4)
	v_mul_f64 v[40:41], v[54:55], v[18:19]
	s_waitcnt vmcnt(0)
	v_mul_f64 v[44:45], v[62:63], v[66:67]
	v_mul_f64 v[42:43], v[54:55], v[16:17]
	;; [unrolled: 1-line block ×3, first 2 shown]
	v_add_f64 v[62:63], v[99:100], -v[90:91]
	v_fma_f64 v[138:139], v[52:53], v[16:17], v[40:41]
	v_fma_f64 v[140:141], v[60:61], v[64:65], v[44:45]
	buffer_load_dword v44, off, s[60:63], 0 offset:560 ; 4-byte Folded Reload
	buffer_load_dword v45, off, s[60:63], 0 offset:564 ; 4-byte Folded Reload
	;; [unrolled: 1-line block ×4, first 2 shown]
	v_fma_f64 v[52:53], v[52:53], v[18:19], -v[42:43]
	buffer_load_dword v40, off, s[60:63], 0 offset:544 ; 4-byte Folded Reload
	buffer_load_dword v41, off, s[60:63], 0 offset:548 ; 4-byte Folded Reload
	;; [unrolled: 1-line block ×4, first 2 shown]
	v_fma_f64 v[54:55], v[60:61], v[66:67], -v[34:35]
	s_waitcnt vmcnt(4) lgkmcnt(2)
	v_mul_f64 v[16:17], v[46:47], v[22:23]
	v_mul_f64 v[18:19], v[46:47], v[20:21]
	buffer_load_dword v46, off, s[60:63], 0 offset:656 ; 4-byte Folded Reload
	buffer_load_dword v47, off, s[60:63], 0 offset:660 ; 4-byte Folded Reload
	;; [unrolled: 1-line block ×4, first 2 shown]
	s_waitcnt vmcnt(4)
	v_mul_f64 v[32:33], v[42:43], v[74:75]
	v_mul_f64 v[34:35], v[42:43], v[72:73]
	v_fma_f64 v[142:143], v[44:45], v[20:21], v[16:17]
	v_fma_f64 v[144:145], v[44:45], v[22:23], -v[18:19]
	v_add_f64 v[16:17], v[96:97], v[88:89]
	v_fma_f64 v[146:147], v[40:41], v[72:73], v[32:33]
	v_fma_f64 v[148:149], v[40:41], v[74:75], -v[34:35]
	v_add_f64 v[18:19], v[24:25], v[92:93]
	v_add_f64 v[20:21], v[94:95], -v[112:113]
	v_add_f64 v[72:73], v[104:105], -v[122:123]
	v_fma_f64 v[16:17], v[16:17], -0.5, v[24:25]
	v_add_f64 v[18:19], v[18:19], v[96:97]
	v_fma_f64 v[60:61], v[20:21], s[16:17], v[16:17]
	v_fma_f64 v[16:17], v[20:21], s[12:13], v[16:17]
	v_add_f64 v[18:19], v[18:19], v[88:89]
	v_fma_f64 v[16:17], v[62:63], s[4:5], v[16:17]
	s_waitcnt vmcnt(0)
	v_mul_f64 v[36:37], v[48:49], v[82:83]
	v_mul_f64 v[38:39], v[48:49], v[80:81]
	buffer_load_dword v48, off, s[60:63], 0 offset:640 ; 4-byte Folded Reload
	buffer_load_dword v49, off, s[60:63], 0 offset:644 ; 4-byte Folded Reload
	;; [unrolled: 1-line block ×4, first 2 shown]
	v_fma_f64 v[40:41], v[46:47], v[80:81], v[36:37]
	v_fma_f64 v[36:37], v[46:47], v[82:83], -v[38:39]
	buffer_load_dword v44, off, s[60:63], 0 offset:624 ; 4-byte Folded Reload
	buffer_load_dword v45, off, s[60:63], 0 offset:628 ; 4-byte Folded Reload
	;; [unrolled: 1-line block ×8, first 2 shown]
	v_add_f64 v[82:83], v[101:102], -v[120:121]
	s_waitcnt vmcnt(8)
	v_mul_f64 v[42:43], v[50:51], v[78:79]
	v_mul_f64 v[22:23], v[50:51], v[76:77]
	v_fma_f64 v[38:39], v[48:49], v[76:77], v[42:43]
	s_waitcnt vmcnt(4) lgkmcnt(1)
	v_mul_f64 v[32:33], v[46:47], v[30:31]
	v_mul_f64 v[34:35], v[46:47], v[28:29]
	s_waitcnt vmcnt(0) lgkmcnt(0)
	v_mul_f64 v[42:43], v[66:67], v[86:87]
	v_mul_f64 v[56:57], v[66:67], v[84:85]
	v_fma_f64 v[46:47], v[48:49], v[78:79], -v[22:23]
	v_fma_f64 v[22:23], v[58:59], -0.5, v[24:25]
	v_add_f64 v[58:59], v[88:89], -v[110:111]
	v_fma_f64 v[24:25], v[62:63], s[0:1], v[60:61]
	v_fma_f64 v[48:49], v[44:45], v[28:29], v[32:33]
	v_fma_f64 v[44:45], v[44:45], v[30:31], -v[34:35]
	v_fma_f64 v[50:51], v[64:65], v[84:85], v[42:43]
	v_fma_f64 v[42:43], v[64:65], v[86:87], -v[56:57]
	v_add_f64 v[28:29], v[92:93], -v[96:97]
	v_add_f64 v[30:31], v[99:100], v[90:91]
	v_add_f64 v[32:33], v[110:111], -v[88:89]
	v_fma_f64 v[34:35], v[62:63], s[12:13], v[22:23]
	v_add_f64 v[56:57], v[96:97], -v[92:93]
	v_fma_f64 v[22:23], v[62:63], s[16:17], v[22:23]
	v_add_f64 v[60:61], v[26:27], v[94:95]
	v_add_f64 v[64:65], v[92:93], -v[110:111]
	v_add_f64 v[62:63], v[96:97], -v[88:89]
	v_fma_f64 v[30:31], v[30:31], -0.5, v[26:27]
	v_add_f64 v[66:67], v[28:29], v[32:33]
	v_fma_f64 v[34:35], v[20:21], s[0:1], v[34:35]
	v_add_f64 v[56:57], v[56:57], v[58:59]
	v_fma_f64 v[20:21], v[20:21], s[4:5], v[22:23]
	v_add_f64 v[22:23], v[94:95], v[112:113]
	v_add_f64 v[58:59], v[60:61], v[99:100]
	;; [unrolled: 1-line block ×3, first 2 shown]
	v_fma_f64 v[60:61], v[64:65], s[12:13], v[30:31]
	v_fma_f64 v[28:29], v[66:67], s[2:3], v[24:25]
	;; [unrolled: 1-line block ×5, first 2 shown]
	v_fma_f64 v[18:19], v[22:23], -0.5, v[26:27]
	v_add_f64 v[56:57], v[106:107], v[116:117]
	v_add_f64 v[66:67], v[99:100], -v[94:95]
	v_add_f64 v[22:23], v[58:59], v[90:91]
	v_fma_f64 v[26:27], v[62:63], s[4:5], v[60:61]
	v_add_f64 v[34:35], v[94:95], -v[99:100]
	v_add_f64 v[58:59], v[112:113], -v[90:91]
	v_fma_f64 v[30:31], v[64:65], s[16:17], v[30:31]
	v_fma_f64 v[60:61], v[62:63], s[16:17], v[18:19]
	;; [unrolled: 1-line block ×3, first 2 shown]
	v_fma_f64 v[56:57], v[56:57], -0.5, v[12:13]
	v_add_f64 v[66:67], v[66:67], v[68:69]
	v_add_f64 v[68:69], v[101:102], v[120:121]
	v_add_f64 v[76:77], v[108:109], -v[118:119]
	v_add_f64 v[58:59], v[34:35], v[58:59]
	v_fma_f64 v[62:63], v[62:63], s[0:1], v[30:31]
	v_fma_f64 v[60:61], v[64:65], s[4:5], v[60:61]
	v_fma_f64 v[64:65], v[64:65], s[0:1], v[18:19]
	v_fma_f64 v[74:75], v[72:73], s[16:17], v[56:57]
	v_add_f64 v[34:35], v[22:23], v[112:113]
	v_fma_f64 v[12:13], v[68:69], -0.5, v[12:13]
	v_fma_f64 v[56:57], v[72:73], s[12:13], v[56:57]
	v_fma_f64 v[30:31], v[58:59], s[2:3], v[26:27]
	;; [unrolled: 1-line block ×5, first 2 shown]
	v_add_f64 v[58:59], v[70:71], v[116:117]
	v_fma_f64 v[60:61], v[76:77], s[0:1], v[74:75]
	v_add_f64 v[62:63], v[101:102], -v[106:107]
	v_add_f64 v[64:65], v[108:109], v[118:119]
	v_add_f64 v[66:67], v[120:121], -v[116:117]
	v_fma_f64 v[68:69], v[76:77], s[12:13], v[12:13]
	v_add_f64 v[70:71], v[106:107], -v[101:102]
	v_add_f64 v[74:75], v[116:117], -v[120:121]
	v_fma_f64 v[12:13], v[76:77], s[16:17], v[12:13]
	v_add_f64 v[78:79], v[14:15], v[104:105]
	v_add_f64 v[84:85], v[118:119], -v[122:123]
	v_fma_f64 v[80:81], v[64:65], -0.5, v[14:15]
	v_add_f64 v[62:63], v[62:63], v[66:67]
	v_fma_f64 v[64:65], v[76:77], s[4:5], v[56:57]
	v_fma_f64 v[66:67], v[72:73], s[0:1], v[68:69]
	v_add_f64 v[68:69], v[70:71], v[74:75]
	v_fma_f64 v[70:71], v[72:73], s[4:5], v[12:13]
	v_add_f64 v[72:73], v[104:105], v[122:123]
	v_add_f64 v[74:75], v[78:79], v[108:109]
	v_fma_f64 v[76:77], v[82:83], s[12:13], v[80:81]
	v_add_f64 v[78:79], v[106:107], -v[116:117]
	v_add_f64 v[12:13], v[58:59], v[120:121]
	v_fma_f64 v[56:57], v[62:63], s[2:3], v[60:61]
	v_fma_f64 v[60:61], v[62:63], s[2:3], v[64:65]
	;; [unrolled: 1-line block ×3, first 2 shown]
	v_fma_f64 v[14:15], v[72:73], -0.5, v[14:15]
	v_fma_f64 v[68:69], v[68:69], s[2:3], v[70:71]
	v_add_f64 v[58:59], v[74:75], v[118:119]
	v_add_f64 v[70:71], v[114:115], v[130:131]
	v_fma_f64 v[74:75], v[82:83], s[16:17], v[80:81]
	v_add_f64 v[80:81], v[108:109], -v[104:105]
	v_fma_f64 v[62:63], v[78:79], s[4:5], v[76:77]
	v_add_f64 v[66:67], v[104:105], -v[108:109]
	v_add_f64 v[72:73], v[122:123], -v[118:119]
	v_fma_f64 v[76:77], v[78:79], s[16:17], v[14:15]
	v_fma_f64 v[14:15], v[78:79], s[12:13], v[14:15]
	v_add_f64 v[86:87], v[8:9], v[124:125]
	v_fma_f64 v[88:89], v[70:71], -0.5, v[8:9]
	v_add_f64 v[90:91], v[126:127], -v[136:137]
	v_fma_f64 v[70:71], v[78:79], s[0:1], v[74:75]
	v_add_f64 v[74:75], v[80:81], v[84:85]
	v_add_f64 v[80:81], v[124:125], v[134:135]
	;; [unrolled: 1-line block ×3, first 2 shown]
	v_fma_f64 v[72:73], v[82:83], s[4:5], v[76:77]
	v_fma_f64 v[76:77], v[82:83], s[0:1], v[14:15]
	v_add_f64 v[78:79], v[86:87], v[114:115]
	v_fma_f64 v[82:83], v[90:91], s[16:17], v[88:89]
	v_add_f64 v[84:85], v[128:129], -v[132:133]
	v_add_f64 v[14:15], v[58:59], v[122:123]
	v_fma_f64 v[8:9], v[80:81], -0.5, v[8:9]
	v_fma_f64 v[58:59], v[66:67], s[2:3], v[62:63]
	v_fma_f64 v[62:63], v[66:67], s[2:3], v[70:71]
	;; [unrolled: 1-line block ×4, first 2 shown]
	v_add_f64 v[72:73], v[78:79], v[130:131]
	v_fma_f64 v[74:75], v[84:85], s[0:1], v[82:83]
	v_add_f64 v[76:77], v[124:125], -v[114:115]
	v_add_f64 v[78:79], v[10:11], v[126:127]
	v_add_f64 v[80:81], v[128:129], v[132:133]
	v_add_f64 v[82:83], v[134:135], -v[130:131]
	v_fma_f64 v[86:87], v[90:91], s[12:13], v[88:89]
	v_fma_f64 v[88:89], v[84:85], s[12:13], v[8:9]
	v_add_f64 v[92:93], v[114:115], -v[124:125]
	v_add_f64 v[94:95], v[130:131], -v[134:135]
	v_fma_f64 v[8:9], v[84:85], s[16:17], v[8:9]
	v_add_f64 v[78:79], v[78:79], v[128:129]
	v_fma_f64 v[96:97], v[80:81], -0.5, v[10:11]
	v_add_f64 v[99:100], v[124:125], -v[134:135]
	v_add_f64 v[76:77], v[76:77], v[82:83]
	v_fma_f64 v[82:83], v[90:91], s[0:1], v[88:89]
	v_add_f64 v[88:89], v[126:127], v[136:137]
	v_fma_f64 v[80:81], v[84:85], s[4:5], v[86:87]
	;; [unrolled: 2-line block ×4, first 2 shown]
	v_add_f64 v[92:93], v[114:115], -v[130:131]
	v_add_f64 v[8:9], v[72:73], v[134:135]
	v_fma_f64 v[72:73], v[76:77], s[2:3], v[74:75]
	v_fma_f64 v[74:75], v[88:89], -0.5, v[10:11]
	v_fma_f64 v[76:77], v[76:77], s[2:3], v[80:81]
	v_fma_f64 v[80:81], v[84:85], s[2:3], v[82:83]
	;; [unrolled: 1-line block ×3, first 2 shown]
	v_add_f64 v[10:11], v[78:79], v[136:137]
	v_fma_f64 v[78:79], v[92:93], s[4:5], v[90:91]
	v_add_f64 v[82:83], v[126:127], -v[128:129]
	v_add_f64 v[86:87], v[136:137], -v[132:133]
	v_add_f64 v[88:89], v[4:5], v[138:139]
	v_fma_f64 v[90:91], v[99:100], s[16:17], v[96:97]
	v_add_f64 v[94:95], v[140:141], v[142:143]
	v_fma_f64 v[96:97], v[92:93], s[16:17], v[74:75]
	v_add_f64 v[101:102], v[128:129], -v[126:127]
	v_add_f64 v[104:105], v[132:133], -v[136:137]
	v_fma_f64 v[74:75], v[92:93], s[12:13], v[74:75]
	v_add_f64 v[82:83], v[82:83], v[86:87]
	v_add_f64 v[86:87], v[88:89], v[140:141]
	v_fma_f64 v[88:89], v[92:93], s[0:1], v[90:91]
	v_fma_f64 v[90:91], v[94:95], -0.5, v[4:5]
	v_add_f64 v[94:95], v[52:53], -v[148:149]
	v_fma_f64 v[92:93], v[99:100], s[4:5], v[96:97]
	v_add_f64 v[96:97], v[101:102], v[104:105]
	v_fma_f64 v[99:100], v[99:100], s[0:1], v[74:75]
	v_add_f64 v[101:102], v[138:139], v[146:147]
	v_add_f64 v[104:105], v[86:87], v[142:143]
	v_fma_f64 v[74:75], v[82:83], s[2:3], v[78:79]
	v_fma_f64 v[78:79], v[82:83], s[2:3], v[88:89]
	;; [unrolled: 1-line block ×3, first 2 shown]
	v_add_f64 v[106:107], v[54:55], -v[144:145]
	v_fma_f64 v[82:83], v[96:97], s[2:3], v[92:93]
	v_fma_f64 v[86:87], v[96:97], s[2:3], v[99:100]
	v_fma_f64 v[92:93], v[101:102], -0.5, v[4:5]
	v_add_f64 v[96:97], v[138:139], -v[140:141]
	v_add_f64 v[99:100], v[146:147], -v[142:143]
	v_fma_f64 v[90:91], v[94:95], s[12:13], v[90:91]
	v_add_f64 v[4:5], v[104:105], v[146:147]
	v_fma_f64 v[88:89], v[106:107], s[0:1], v[88:89]
	v_add_f64 v[101:102], v[6:7], v[52:53]
	v_add_f64 v[104:105], v[54:55], v[144:145]
	v_fma_f64 v[108:109], v[106:107], s[12:13], v[92:93]
	v_add_f64 v[110:111], v[140:141], -v[138:139]
	v_add_f64 v[112:113], v[142:143], -v[146:147]
	v_add_f64 v[96:97], v[96:97], v[99:100]
	v_fma_f64 v[90:91], v[106:107], s[4:5], v[90:91]
	v_fma_f64 v[99:100], v[106:107], s[16:17], v[92:93]
	v_add_f64 v[101:102], v[101:102], v[54:55]
	v_fma_f64 v[106:107], v[104:105], -0.5, v[6:7]
	v_add_f64 v[114:115], v[138:139], -v[146:147]
	v_fma_f64 v[104:105], v[94:95], s[0:1], v[108:109]
	v_add_f64 v[108:109], v[110:111], v[112:113]
	v_fma_f64 v[88:89], v[96:97], s[2:3], v[88:89]
	v_fma_f64 v[92:93], v[96:97], s[2:3], v[90:91]
	;; [unrolled: 1-line block ×3, first 2 shown]
	v_add_f64 v[96:97], v[52:53], v[148:149]
	v_add_f64 v[94:95], v[101:102], v[144:145]
	v_fma_f64 v[101:102], v[114:115], s[12:13], v[106:107]
	v_add_f64 v[110:111], v[140:141], -v[142:143]
	v_fma_f64 v[99:100], v[108:109], s[2:3], v[104:105]
	v_add_f64 v[112:113], v[38:39], v[48:49]
	v_add_f64 v[116:117], v[52:53], -v[54:55]
	v_add_f64 v[118:119], v[148:149], -v[144:145]
	v_fma_f64 v[104:105], v[108:109], s[2:3], v[90:91]
	v_fma_f64 v[90:91], v[96:97], -0.5, v[6:7]
	v_add_f64 v[96:97], v[0:1], v[40:41]
	v_fma_f64 v[106:107], v[114:115], s[16:17], v[106:107]
	v_add_f64 v[6:7], v[94:95], v[148:149]
	v_fma_f64 v[94:95], v[110:111], s[4:5], v[101:102]
	v_fma_f64 v[108:109], v[112:113], -0.5, v[0:1]
	v_add_f64 v[112:113], v[36:37], -v[42:43]
	v_add_f64 v[101:102], v[116:117], v[118:119]
	v_fma_f64 v[116:117], v[110:111], s[16:17], v[90:91]
	v_add_f64 v[52:53], v[54:55], -v[52:53]
	v_add_f64 v[54:55], v[144:145], -v[148:149]
	v_fma_f64 v[90:91], v[110:111], s[12:13], v[90:91]
	v_add_f64 v[96:97], v[96:97], v[38:39]
	v_fma_f64 v[106:107], v[110:111], s[0:1], v[106:107]
	v_add_f64 v[110:111], v[40:41], v[50:51]
	v_fma_f64 v[118:119], v[112:113], s[16:17], v[108:109]
	v_add_f64 v[120:121], v[46:47], -v[44:45]
	v_add_f64 v[122:123], v[40:41], -v[38:39]
	;; [unrolled: 1-line block ×3, first 2 shown]
	v_fma_f64 v[116:117], v[114:115], s[4:5], v[116:117]
	v_add_f64 v[52:53], v[52:53], v[54:55]
	v_fma_f64 v[54:55], v[114:115], s[0:1], v[90:91]
	v_add_f64 v[96:97], v[96:97], v[48:49]
	v_fma_f64 v[110:111], v[110:111], -0.5, v[0:1]
	v_fma_f64 v[114:115], v[120:121], s[0:1], v[118:119]
	v_fma_f64 v[90:91], v[101:102], s[2:3], v[94:95]
	v_add_f64 v[118:119], v[122:123], v[124:125]
	v_fma_f64 v[94:95], v[101:102], s[2:3], v[106:107]
	v_fma_f64 v[101:102], v[52:53], s[2:3], v[116:117]
	;; [unrolled: 1-line block ×3, first 2 shown]
	v_add_f64 v[54:55], v[46:47], v[44:45]
	v_add_f64 v[116:117], v[36:37], v[42:43]
	;; [unrolled: 1-line block ×3, first 2 shown]
	v_fma_f64 v[96:97], v[112:113], s[12:13], v[108:109]
	v_fma_f64 v[108:109], v[120:121], s[12:13], v[110:111]
	v_add_f64 v[124:125], v[2:3], v[36:37]
	v_fma_f64 v[52:53], v[118:119], s[2:3], v[114:115]
	v_add_f64 v[114:115], v[38:39], -v[40:41]
	v_add_f64 v[122:123], v[48:49], -v[50:51]
	v_fma_f64 v[54:55], v[54:55], -0.5, v[2:3]
	v_add_f64 v[40:41], v[40:41], -v[50:51]
	v_add_f64 v[38:39], v[38:39], -v[48:49]
	v_fma_f64 v[2:3], v[116:117], -0.5, v[2:3]
	v_fma_f64 v[50:51], v[120:121], s[4:5], v[96:97]
	v_fma_f64 v[96:97], v[112:113], s[0:1], v[108:109]
	;; [unrolled: 1-line block ×3, first 2 shown]
	v_add_f64 v[110:111], v[124:125], v[46:47]
	v_add_f64 v[48:49], v[114:115], v[122:123]
	v_fma_f64 v[114:115], v[40:41], s[12:13], v[54:55]
	v_add_f64 v[116:117], v[36:37], -v[46:47]
	v_add_f64 v[120:121], v[42:43], -v[44:45]
	v_fma_f64 v[54:55], v[40:41], s[16:17], v[54:55]
	v_fma_f64 v[122:123], v[38:39], s[16:17], v[2:3]
	v_add_f64 v[36:37], v[46:47], -v[36:37]
	v_add_f64 v[46:47], v[44:45], -v[42:43]
	v_fma_f64 v[2:3], v[38:39], s[12:13], v[2:3]
	v_add_f64 v[110:111], v[110:111], v[44:45]
	v_fma_f64 v[108:109], v[112:113], s[4:5], v[108:109]
	v_fma_f64 v[112:113], v[38:39], s[4:5], v[114:115]
	v_add_f64 v[114:115], v[116:117], v[120:121]
	v_fma_f64 v[38:39], v[38:39], s[0:1], v[54:55]
	;; [unrolled: 3-line block ×3, first 2 shown]
	v_add_f64 v[2:3], v[110:111], v[42:43]
	v_fma_f64 v[36:37], v[118:119], s[2:3], v[50:51]
	v_fma_f64 v[40:41], v[48:49], s[2:3], v[96:97]
	;; [unrolled: 1-line block ×7, first 2 shown]
	ds_write_b128 v103, v[32:35]
	ds_write_b128 v150, v[28:31] offset:1360
	ds_write_b128 v150, v[24:27] offset:2720
	;; [unrolled: 1-line block ×24, first 2 shown]
	s_waitcnt lgkmcnt(0)
	; wave barrier
	s_waitcnt lgkmcnt(0)
	ds_read_b128 v[0:3], v103
	buffer_load_dword v4, off, s[60:63], 0 offset:120 ; 4-byte Folded Reload
	buffer_load_dword v5, off, s[60:63], 0 offset:124 ; 4-byte Folded Reload
	s_mov_b32 s2, 0xace01346
	s_mov_b32 s3, 0x3f634679
	s_waitcnt vmcnt(1)
	v_mov_b32_e32 v14, v4
	s_waitcnt vmcnt(0)
	ds_read_b128 v[4:7], v103 offset:400
	buffer_load_dword v16, off, s[60:63], 0 offset:288 ; 4-byte Folded Reload
	buffer_load_dword v17, off, s[60:63], 0 offset:292 ; 4-byte Folded Reload
	buffer_load_dword v18, off, s[60:63], 0 offset:296 ; 4-byte Folded Reload
	buffer_load_dword v19, off, s[60:63], 0 offset:300 ; 4-byte Folded Reload
	v_mad_u64_u32 v[12:13], s[0:1], s10, v14, 0
	v_mad_u64_u32 v[13:14], s[0:1], s11, v14, v[13:14]
	;; [unrolled: 1-line block ×3, first 2 shown]
	s_waitcnt vmcnt(0) lgkmcnt(1)
	v_mul_f64 v[8:9], v[18:19], v[2:3]
	v_mul_f64 v[10:11], v[18:19], v[0:1]
	buffer_load_dword v18, off, s[60:63], 0 offset:320 ; 4-byte Folded Reload
	buffer_load_dword v19, off, s[60:63], 0 offset:324 ; 4-byte Folded Reload
	;; [unrolled: 1-line block ×4, first 2 shown]
	v_fma_f64 v[0:1], v[16:17], v[0:1], v[8:9]
	v_mov_b32_e32 v8, v15
	v_fma_f64 v[2:3], v[16:17], v[2:3], -v[10:11]
	v_mad_u64_u32 v[15:16], s[0:1], s9, v198, v[8:9]
	v_mul_f64 v[8:9], v[0:1], s[2:3]
	v_lshlrev_b64 v[0:1], 4, v[12:13]
	v_mul_f64 v[10:11], v[2:3], s[2:3]
	v_mov_b32_e32 v3, s15
	v_add_co_u32_e64 v2, s[0:1], s14, v0
	v_addc_co_u32_e64 v3, s[0:1], v3, v1, s[0:1]
	v_lshlrev_b64 v[0:1], 4, v[14:15]
	v_add_co_u32_e64 v0, s[0:1], v2, v0
	v_addc_co_u32_e64 v1, s[0:1], v3, v1, s[0:1]
	global_store_dwordx4 v[0:1], v[8:11], off
	s_mul_i32 s0, s9, 25
	s_mul_hi_u32 s1, s8, 25
	s_add_i32 s1, s1, s0
	s_mul_i32 s0, s8, 25
	s_lshl_b64 s[4:5], s[0:1], 4
	v_mov_b32_e32 v28, s5
	v_add_co_u32_e64 v0, s[0:1], s4, v0
	v_addc_co_u32_e64 v1, s[0:1], v1, v28, s[0:1]
	s_waitcnt vmcnt(1) lgkmcnt(0)
	v_mul_f64 v[12:13], v[20:21], v[6:7]
	v_mul_f64 v[16:17], v[20:21], v[4:5]
	v_fma_f64 v[12:13], v[18:19], v[4:5], v[12:13]
	v_fma_f64 v[14:15], v[18:19], v[6:7], -v[16:17]
	ds_read_b128 v[4:7], v103 offset:800
	v_mul_f64 v[8:9], v[12:13], s[2:3]
	v_mul_f64 v[10:11], v[14:15], s[2:3]
	ds_read_b128 v[12:15], v103 offset:1200
	buffer_load_dword v20, off, s[60:63], 0 offset:240 ; 4-byte Folded Reload
	buffer_load_dword v21, off, s[60:63], 0 offset:244 ; 4-byte Folded Reload
	;; [unrolled: 1-line block ×4, first 2 shown]
	s_waitcnt vmcnt(0) lgkmcnt(1)
	v_mul_f64 v[16:17], v[22:23], v[6:7]
	v_mul_f64 v[18:19], v[22:23], v[4:5]
	v_fma_f64 v[4:5], v[20:21], v[4:5], v[16:17]
	v_fma_f64 v[6:7], v[20:21], v[6:7], -v[18:19]
	buffer_load_dword v20, off, s[60:63], 0 offset:256 ; 4-byte Folded Reload
	buffer_load_dword v21, off, s[60:63], 0 offset:260 ; 4-byte Folded Reload
	;; [unrolled: 1-line block ×4, first 2 shown]
	v_mul_f64 v[4:5], v[4:5], s[2:3]
	global_store_dwordx4 v[0:1], v[8:11], off
	ds_read_b128 v[8:11], v103 offset:1600
	v_mul_f64 v[6:7], v[6:7], s[2:3]
	v_add_co_u32_e64 v0, s[0:1], s4, v0
	v_addc_co_u32_e64 v1, s[0:1], v1, v28, s[0:1]
	s_waitcnt vmcnt(1) lgkmcnt(1)
	v_mul_f64 v[16:17], v[22:23], v[14:15]
	v_mul_f64 v[18:19], v[22:23], v[12:13]
	v_fma_f64 v[16:17], v[20:21], v[12:13], v[16:17]
	v_fma_f64 v[18:19], v[20:21], v[14:15], -v[18:19]
	ds_read_b128 v[12:15], v103 offset:2000
	buffer_load_dword v24, off, s[60:63], 0 offset:224 ; 4-byte Folded Reload
	buffer_load_dword v25, off, s[60:63], 0 offset:228 ; 4-byte Folded Reload
	;; [unrolled: 1-line block ×4, first 2 shown]
	s_waitcnt vmcnt(0) lgkmcnt(1)
	v_mul_f64 v[20:21], v[26:27], v[10:11]
	v_mul_f64 v[22:23], v[26:27], v[8:9]
	global_store_dwordx4 v[0:1], v[4:7], off
	v_add_co_u32_e64 v0, s[0:1], s4, v0
	v_mul_f64 v[4:5], v[16:17], s[2:3]
	v_mul_f64 v[6:7], v[18:19], s[2:3]
	v_addc_co_u32_e64 v1, s[0:1], v1, v28, s[0:1]
	v_fma_f64 v[8:9], v[24:25], v[8:9], v[20:21]
	v_fma_f64 v[16:17], v[24:25], v[10:11], -v[22:23]
	buffer_load_dword v22, off, s[60:63], 0 offset:208 ; 4-byte Folded Reload
	buffer_load_dword v23, off, s[60:63], 0 offset:212 ; 4-byte Folded Reload
	buffer_load_dword v24, off, s[60:63], 0 offset:216 ; 4-byte Folded Reload
	buffer_load_dword v25, off, s[60:63], 0 offset:220 ; 4-byte Folded Reload
	s_waitcnt vmcnt(0) lgkmcnt(0)
	v_mul_f64 v[18:19], v[24:25], v[14:15]
	v_mul_f64 v[20:21], v[24:25], v[12:13]
	global_store_dwordx4 v[0:1], v[4:7], off
	v_add_co_u32_e64 v0, s[0:1], s4, v0
	v_mul_f64 v[4:5], v[8:9], s[2:3]
	ds_read_b128 v[8:11], v103 offset:2400
	v_mul_f64 v[6:7], v[16:17], s[2:3]
	v_fma_f64 v[16:17], v[22:23], v[12:13], v[18:19]
	v_fma_f64 v[18:19], v[22:23], v[14:15], -v[20:21]
	ds_read_b128 v[12:15], v103 offset:2800
	buffer_load_dword v24, off, s[60:63], 0 offset:192 ; 4-byte Folded Reload
	buffer_load_dword v25, off, s[60:63], 0 offset:196 ; 4-byte Folded Reload
	buffer_load_dword v26, off, s[60:63], 0 offset:200 ; 4-byte Folded Reload
	buffer_load_dword v27, off, s[60:63], 0 offset:204 ; 4-byte Folded Reload
	v_addc_co_u32_e64 v1, s[0:1], v1, v28, s[0:1]
	global_store_dwordx4 v[0:1], v[4:7], off
	s_nop 0
	v_mul_f64 v[4:5], v[16:17], s[2:3]
	v_mul_f64 v[6:7], v[18:19], s[2:3]
	v_add_co_u32_e64 v0, s[0:1], s4, v0
	v_addc_co_u32_e64 v1, s[0:1], v1, v28, s[0:1]
	s_waitcnt vmcnt(1) lgkmcnt(1)
	v_mul_f64 v[20:21], v[26:27], v[10:11]
	v_mul_f64 v[22:23], v[26:27], v[8:9]
	v_fma_f64 v[8:9], v[24:25], v[8:9], v[20:21]
	v_fma_f64 v[16:17], v[24:25], v[10:11], -v[22:23]
	buffer_load_dword v22, off, s[60:63], 0 offset:176 ; 4-byte Folded Reload
	buffer_load_dword v23, off, s[60:63], 0 offset:180 ; 4-byte Folded Reload
	buffer_load_dword v24, off, s[60:63], 0 offset:184 ; 4-byte Folded Reload
	buffer_load_dword v25, off, s[60:63], 0 offset:188 ; 4-byte Folded Reload
	s_waitcnt vmcnt(0) lgkmcnt(0)
	v_mul_f64 v[18:19], v[24:25], v[14:15]
	v_mul_f64 v[20:21], v[24:25], v[12:13]
	global_store_dwordx4 v[0:1], v[4:7], off
	v_add_co_u32_e64 v0, s[0:1], s4, v0
	v_mul_f64 v[4:5], v[8:9], s[2:3]
	ds_read_b128 v[8:11], v103 offset:3200
	v_mul_f64 v[6:7], v[16:17], s[2:3]
	v_fma_f64 v[16:17], v[22:23], v[12:13], v[18:19]
	v_fma_f64 v[18:19], v[22:23], v[14:15], -v[20:21]
	ds_read_b128 v[12:15], v103 offset:3600
	buffer_load_dword v24, off, s[60:63], 0 offset:160 ; 4-byte Folded Reload
	buffer_load_dword v25, off, s[60:63], 0 offset:164 ; 4-byte Folded Reload
	buffer_load_dword v26, off, s[60:63], 0 offset:168 ; 4-byte Folded Reload
	buffer_load_dword v27, off, s[60:63], 0 offset:172 ; 4-byte Folded Reload
	v_addc_co_u32_e64 v1, s[0:1], v1, v28, s[0:1]
	global_store_dwordx4 v[0:1], v[4:7], off
	s_nop 0
	v_mul_f64 v[4:5], v[16:17], s[2:3]
	v_mul_f64 v[6:7], v[18:19], s[2:3]
	v_add_co_u32_e64 v0, s[0:1], s4, v0
	v_addc_co_u32_e64 v1, s[0:1], v1, v28, s[0:1]
	s_waitcnt vmcnt(1) lgkmcnt(1)
	v_mul_f64 v[20:21], v[26:27], v[10:11]
	v_mul_f64 v[22:23], v[26:27], v[8:9]
	;; [unrolled: 31-line block ×4, first 2 shown]
	v_fma_f64 v[8:9], v[24:25], v[8:9], v[20:21]
	v_fma_f64 v[16:17], v[24:25], v[10:11], -v[22:23]
	buffer_load_dword v22, off, s[60:63], 0 offset:368 ; 4-byte Folded Reload
	buffer_load_dword v23, off, s[60:63], 0 offset:372 ; 4-byte Folded Reload
	;; [unrolled: 1-line block ×4, first 2 shown]
	s_waitcnt vmcnt(0) lgkmcnt(0)
	v_mul_f64 v[18:19], v[24:25], v[14:15]
	v_mul_f64 v[20:21], v[24:25], v[12:13]
	global_store_dwordx4 v[0:1], v[4:7], off
	v_add_co_u32_e64 v0, s[0:1], s4, v0
	v_mul_f64 v[4:5], v[8:9], s[2:3]
	v_mul_f64 v[6:7], v[16:17], s[2:3]
	ds_read_b128 v[8:11], v103 offset:5600
	v_fma_f64 v[16:17], v[22:23], v[12:13], v[18:19]
	v_fma_f64 v[18:19], v[22:23], v[14:15], -v[20:21]
	ds_read_b128 v[12:15], v103 offset:6000
	buffer_load_dword v24, off, s[60:63], 0 offset:272 ; 4-byte Folded Reload
	buffer_load_dword v25, off, s[60:63], 0 offset:276 ; 4-byte Folded Reload
	;; [unrolled: 1-line block ×4, first 2 shown]
	v_addc_co_u32_e64 v1, s[0:1], v1, v28, s[0:1]
	global_store_dwordx4 v[0:1], v[4:7], off
	v_add_co_u32_e64 v0, s[0:1], s4, v0
	v_mul_f64 v[4:5], v[16:17], s[2:3]
	v_mul_f64 v[6:7], v[18:19], s[2:3]
	ds_read_b128 v[16:19], v103 offset:6400
	buffer_load_dword v29, off, s[60:63], 0 offset:336 ; 4-byte Folded Reload
	buffer_load_dword v30, off, s[60:63], 0 offset:340 ; 4-byte Folded Reload
	;; [unrolled: 1-line block ×4, first 2 shown]
	v_addc_co_u32_e64 v1, s[0:1], v1, v28, s[0:1]
	s_waitcnt vmcnt(5) lgkmcnt(2)
	v_mul_f64 v[20:21], v[26:27], v[10:11]
	v_mul_f64 v[22:23], v[26:27], v[8:9]
	v_fma_f64 v[8:9], v[24:25], v[8:9], v[20:21]
	v_fma_f64 v[10:11], v[24:25], v[10:11], -v[22:23]
	s_waitcnt vmcnt(0) lgkmcnt(1)
	v_mul_f64 v[20:21], v[31:32], v[14:15]
	v_mul_f64 v[22:23], v[31:32], v[12:13]
	buffer_load_dword v31, off, s[60:63], 0 offset:352 ; 4-byte Folded Reload
	buffer_load_dword v32, off, s[60:63], 0 offset:356 ; 4-byte Folded Reload
	;; [unrolled: 1-line block ×4, first 2 shown]
	s_waitcnt vmcnt(0) lgkmcnt(0)
	v_mul_f64 v[24:25], v[33:34], v[18:19]
	v_mul_f64 v[26:27], v[33:34], v[16:17]
	global_store_dwordx4 v[0:1], v[4:7], off
	v_add_co_u32_e64 v0, s[0:1], s4, v0
	v_mul_f64 v[4:5], v[8:9], s[2:3]
	v_mul_f64 v[6:7], v[10:11], s[2:3]
	v_fma_f64 v[8:9], v[29:30], v[12:13], v[20:21]
	v_fma_f64 v[10:11], v[29:30], v[14:15], -v[22:23]
	v_fma_f64 v[12:13], v[31:32], v[16:17], v[24:25]
	v_fma_f64 v[14:15], v[31:32], v[18:19], -v[26:27]
	v_addc_co_u32_e64 v1, s[0:1], v1, v28, s[0:1]
	global_store_dwordx4 v[0:1], v[4:7], off
	v_mul_f64 v[8:9], v[8:9], s[2:3]
	v_mul_f64 v[10:11], v[10:11], s[2:3]
	;; [unrolled: 1-line block ×4, first 2 shown]
	v_add_co_u32_e64 v0, s[0:1], s4, v0
	v_addc_co_u32_e64 v1, s[0:1], v1, v28, s[0:1]
	global_store_dwordx4 v[0:1], v[8:11], off
	v_add_co_u32_e64 v0, s[0:1], s4, v0
	v_addc_co_u32_e64 v1, s[0:1], v1, v28, s[0:1]
	global_store_dwordx4 v[0:1], v[4:7], off
	s_and_b64 exec, exec, vcc
	s_cbranch_execz .LBB0_15
; %bb.14:
	buffer_load_dword v23, off, s[60:63], 0 offset:112 ; 4-byte Folded Reload
	buffer_load_dword v24, off, s[60:63], 0 offset:116 ; 4-byte Folded Reload
	ds_read_b128 v[8:11], v150 offset:272
	v_or_b32_e32 v22, 0xc0, v198
	s_waitcnt vmcnt(0)
	global_load_dwordx4 v[4:7], v[23:24], off offset:272
	s_waitcnt vmcnt(0) lgkmcnt(0)
	v_mul_f64 v[12:13], v[10:11], v[6:7]
	v_mul_f64 v[6:7], v[8:9], v[6:7]
	v_fma_f64 v[8:9], v[8:9], v[4:5], v[12:13]
	v_fma_f64 v[6:7], v[4:5], v[10:11], -v[6:7]
	v_mul_f64 v[4:5], v[8:9], s[2:3]
	v_mul_f64 v[6:7], v[6:7], s[2:3]
	v_mov_b32_e32 v8, 0xffffe810
	v_mad_u64_u32 v[16:17], s[0:1], s8, v8, v[0:1]
	s_mul_i32 s0, s9, 0xffffe810
	s_sub_i32 s0, s0, s8
	v_add_u32_e32 v17, s0, v17
	v_mad_u64_u32 v[20:21], s[0:1], s8, v22, 0
	global_store_dwordx4 v[16:17], v[4:7], off
	global_load_dwordx4 v[4:7], v[23:24], off offset:672
	ds_read_b128 v[8:11], v103 offset:672
	ds_read_b128 v[12:15], v103 offset:1072
	s_waitcnt vmcnt(0) lgkmcnt(1)
	v_mul_f64 v[0:1], v[10:11], v[6:7]
	v_mul_f64 v[6:7], v[8:9], v[6:7]
	v_fma_f64 v[0:1], v[8:9], v[4:5], v[0:1]
	v_fma_f64 v[6:7], v[4:5], v[10:11], -v[6:7]
	v_add_co_u32_e32 v8, vcc, s4, v16
	v_mul_f64 v[4:5], v[0:1], s[2:3]
	v_mul_f64 v[6:7], v[6:7], s[2:3]
	v_mov_b32_e32 v0, s5
	v_addc_co_u32_e32 v9, vcc, v17, v0, vcc
	v_add_co_u32_e32 v16, vcc, s4, v8
	v_addc_co_u32_e32 v17, vcc, v9, v0, vcc
	global_store_dwordx4 v[8:9], v[4:7], off
	global_load_dwordx4 v[4:7], v[23:24], off offset:1072
	v_mov_b32_e32 v1, v21
	s_waitcnt vmcnt(0) lgkmcnt(0)
	v_mul_f64 v[10:11], v[14:15], v[6:7]
	v_mul_f64 v[6:7], v[12:13], v[6:7]
	v_fma_f64 v[10:11], v[12:13], v[4:5], v[10:11]
	v_fma_f64 v[6:7], v[4:5], v[14:15], -v[6:7]
	v_mul_f64 v[4:5], v[10:11], s[2:3]
	v_mul_f64 v[6:7], v[6:7], s[2:3]
	global_store_dwordx4 v[16:17], v[4:7], off
	global_load_dwordx4 v[4:7], v[23:24], off offset:1472
	ds_read_b128 v[8:11], v103 offset:1472
	ds_read_b128 v[12:15], v103 offset:1872
	s_waitcnt vmcnt(0) lgkmcnt(1)
	v_mul_f64 v[18:19], v[10:11], v[6:7]
	v_mul_f64 v[6:7], v[8:9], v[6:7]
	v_fma_f64 v[8:9], v[8:9], v[4:5], v[18:19]
	v_fma_f64 v[6:7], v[4:5], v[10:11], -v[6:7]
	v_mul_f64 v[4:5], v[8:9], s[2:3]
	v_mul_f64 v[6:7], v[6:7], s[2:3]
	v_add_co_u32_e32 v8, vcc, s4, v16
	v_addc_co_u32_e32 v9, vcc, v17, v0, vcc
	v_add_co_u32_e32 v16, vcc, s4, v8
	v_addc_co_u32_e32 v17, vcc, v9, v0, vcc
	global_store_dwordx4 v[8:9], v[4:7], off
	global_load_dwordx4 v[4:7], v[23:24], off offset:1872
	s_waitcnt vmcnt(0) lgkmcnt(0)
	v_mul_f64 v[10:11], v[14:15], v[6:7]
	v_mul_f64 v[6:7], v[12:13], v[6:7]
	v_fma_f64 v[10:11], v[12:13], v[4:5], v[10:11]
	v_fma_f64 v[6:7], v[4:5], v[14:15], -v[6:7]
	v_mul_f64 v[4:5], v[10:11], s[2:3]
	v_mul_f64 v[6:7], v[6:7], s[2:3]
	global_store_dwordx4 v[16:17], v[4:7], off
	global_load_dwordx4 v[4:7], v[23:24], off offset:2272
	ds_read_b128 v[8:11], v103 offset:2272
	ds_read_b128 v[12:15], v103 offset:2672
	s_waitcnt vmcnt(0) lgkmcnt(1)
	v_mul_f64 v[18:19], v[10:11], v[6:7]
	v_mul_f64 v[6:7], v[8:9], v[6:7]
	v_fma_f64 v[8:9], v[8:9], v[4:5], v[18:19]
	v_fma_f64 v[6:7], v[4:5], v[10:11], -v[6:7]
	v_mul_f64 v[4:5], v[8:9], s[2:3]
	v_mul_f64 v[6:7], v[6:7], s[2:3]
	v_add_co_u32_e32 v8, vcc, s4, v16
	v_addc_co_u32_e32 v9, vcc, v17, v0, vcc
	v_add_co_u32_e32 v16, vcc, s4, v8
	v_addc_co_u32_e32 v17, vcc, v9, v0, vcc
	global_store_dwordx4 v[8:9], v[4:7], off
	global_load_dwordx4 v[4:7], v[23:24], off offset:2672
	s_waitcnt vmcnt(0) lgkmcnt(0)
	v_mul_f64 v[10:11], v[14:15], v[6:7]
	v_mul_f64 v[6:7], v[12:13], v[6:7]
	v_fma_f64 v[10:11], v[12:13], v[4:5], v[10:11]
	v_fma_f64 v[6:7], v[4:5], v[14:15], -v[6:7]
	v_mul_f64 v[4:5], v[10:11], s[2:3]
	v_mul_f64 v[6:7], v[6:7], s[2:3]
	global_store_dwordx4 v[16:17], v[4:7], off
	global_load_dwordx4 v[4:7], v[23:24], off offset:3072
	ds_read_b128 v[8:11], v103 offset:3072
	ds_read_b128 v[12:15], v103 offset:3472
	s_waitcnt vmcnt(0) lgkmcnt(1)
	v_mul_f64 v[18:19], v[10:11], v[6:7]
	v_mul_f64 v[6:7], v[8:9], v[6:7]
	v_fma_f64 v[8:9], v[8:9], v[4:5], v[18:19]
	v_fma_f64 v[6:7], v[4:5], v[10:11], -v[6:7]
	v_mad_u64_u32 v[10:11], s[0:1], s9, v22, v[1:2]
	v_mov_b32_e32 v22, 0x320
	v_mad_u64_u32 v[16:17], s[0:1], s8, v22, v[16:17]
	v_mov_b32_e32 v21, v10
	v_mul_f64 v[4:5], v[8:9], s[2:3]
	v_mul_f64 v[6:7], v[6:7], s[2:3]
	v_lshlrev_b64 v[8:9], 4, v[20:21]
	s_mul_i32 s0, s9, 0x320
	v_add_co_u32_e32 v8, vcc, v2, v8
	v_addc_co_u32_e32 v9, vcc, v3, v9, vcc
	v_add_u32_e32 v17, s0, v17
	global_store_dwordx4 v[8:9], v[4:7], off
	global_load_dwordx4 v[4:7], v[23:24], off offset:3472
	s_movk_i32 s1, 0x1000
	s_waitcnt vmcnt(0) lgkmcnt(0)
	v_mul_f64 v[8:9], v[14:15], v[6:7]
	v_mul_f64 v[6:7], v[12:13], v[6:7]
	v_fma_f64 v[8:9], v[12:13], v[4:5], v[8:9]
	v_fma_f64 v[6:7], v[4:5], v[14:15], -v[6:7]
	v_mul_f64 v[4:5], v[8:9], s[2:3]
	v_mul_f64 v[6:7], v[6:7], s[2:3]
	global_store_dwordx4 v[16:17], v[4:7], off
	global_load_dwordx4 v[4:7], v[23:24], off offset:3872
	ds_read_b128 v[8:11], v103 offset:3872
	ds_read_b128 v[12:15], v103 offset:4272
	s_waitcnt vmcnt(0) lgkmcnt(1)
	v_mul_f64 v[18:19], v[10:11], v[6:7]
	v_mul_f64 v[6:7], v[8:9], v[6:7]
	v_fma_f64 v[8:9], v[8:9], v[4:5], v[18:19]
	v_fma_f64 v[6:7], v[4:5], v[10:11], -v[6:7]
	v_add_co_u32_e32 v18, vcc, s1, v23
	v_addc_co_u32_e32 v19, vcc, 0, v24, vcc
	v_mul_f64 v[4:5], v[8:9], s[2:3]
	v_mul_f64 v[6:7], v[6:7], s[2:3]
	v_add_co_u32_e32 v8, vcc, s4, v16
	v_addc_co_u32_e32 v9, vcc, v17, v0, vcc
	v_add_co_u32_e32 v16, vcc, s4, v8
	v_addc_co_u32_e32 v17, vcc, v9, v0, vcc
	global_store_dwordx4 v[8:9], v[4:7], off
	global_load_dwordx4 v[4:7], v[18:19], off offset:176
	s_waitcnt vmcnt(0) lgkmcnt(0)
	v_mul_f64 v[10:11], v[14:15], v[6:7]
	v_mul_f64 v[6:7], v[12:13], v[6:7]
	v_fma_f64 v[10:11], v[12:13], v[4:5], v[10:11]
	v_fma_f64 v[6:7], v[4:5], v[14:15], -v[6:7]
	v_mul_f64 v[4:5], v[10:11], s[2:3]
	v_mul_f64 v[6:7], v[6:7], s[2:3]
	global_store_dwordx4 v[16:17], v[4:7], off
	global_load_dwordx4 v[4:7], v[18:19], off offset:576
	ds_read_b128 v[8:11], v103 offset:4672
	ds_read_b128 v[12:15], v103 offset:5072
	s_waitcnt vmcnt(0) lgkmcnt(1)
	v_mul_f64 v[20:21], v[10:11], v[6:7]
	v_mul_f64 v[6:7], v[8:9], v[6:7]
	v_fma_f64 v[8:9], v[8:9], v[4:5], v[20:21]
	v_fma_f64 v[6:7], v[4:5], v[10:11], -v[6:7]
	v_mul_f64 v[4:5], v[8:9], s[2:3]
	v_mul_f64 v[6:7], v[6:7], s[2:3]
	v_add_co_u32_e32 v8, vcc, s4, v16
	v_addc_co_u32_e32 v9, vcc, v17, v0, vcc
	v_add_co_u32_e32 v16, vcc, s4, v8
	v_addc_co_u32_e32 v17, vcc, v9, v0, vcc
	global_store_dwordx4 v[8:9], v[4:7], off
	global_load_dwordx4 v[4:7], v[18:19], off offset:976
	s_waitcnt vmcnt(0) lgkmcnt(0)
	v_mul_f64 v[10:11], v[14:15], v[6:7]
	v_mul_f64 v[6:7], v[12:13], v[6:7]
	v_fma_f64 v[10:11], v[12:13], v[4:5], v[10:11]
	v_fma_f64 v[6:7], v[4:5], v[14:15], -v[6:7]
	v_mul_f64 v[4:5], v[10:11], s[2:3]
	v_mul_f64 v[6:7], v[6:7], s[2:3]
	global_store_dwordx4 v[16:17], v[4:7], off
	global_load_dwordx4 v[4:7], v[18:19], off offset:1376
	ds_read_b128 v[8:11], v103 offset:5472
	ds_read_b128 v[12:15], v103 offset:5872
	s_waitcnt vmcnt(0) lgkmcnt(1)
	v_mul_f64 v[20:21], v[10:11], v[6:7]
	v_mul_f64 v[6:7], v[8:9], v[6:7]
	v_fma_f64 v[8:9], v[8:9], v[4:5], v[20:21]
	v_fma_f64 v[6:7], v[4:5], v[10:11], -v[6:7]
	v_or_b32_e32 v20, 0x188, v198
	v_lshlrev_b32_e32 v1, 4, v20
	v_mul_f64 v[4:5], v[8:9], s[2:3]
	v_mul_f64 v[6:7], v[6:7], s[2:3]
	v_add_co_u32_e32 v8, vcc, s4, v16
	v_addc_co_u32_e32 v9, vcc, v17, v0, vcc
	v_add_co_u32_e32 v16, vcc, s4, v8
	v_addc_co_u32_e32 v17, vcc, v9, v0, vcc
	global_store_dwordx4 v[8:9], v[4:7], off
	global_load_dwordx4 v[4:7], v[18:19], off offset:1776
	s_waitcnt vmcnt(0) lgkmcnt(0)
	v_mul_f64 v[10:11], v[14:15], v[6:7]
	v_mul_f64 v[6:7], v[12:13], v[6:7]
	v_fma_f64 v[10:11], v[12:13], v[4:5], v[10:11]
	v_fma_f64 v[6:7], v[4:5], v[14:15], -v[6:7]
	v_mul_f64 v[4:5], v[10:11], s[2:3]
	v_mul_f64 v[6:7], v[6:7], s[2:3]
	global_store_dwordx4 v[16:17], v[4:7], off
	global_load_dwordx4 v[4:7], v1, s[6:7]
	ds_read_b128 v[8:11], v103 offset:6272
	ds_read_b128 v[12:15], v103 offset:6672
	s_waitcnt vmcnt(0) lgkmcnt(1)
	v_mul_f64 v[0:1], v[10:11], v[6:7]
	v_mul_f64 v[6:7], v[8:9], v[6:7]
	v_fma_f64 v[0:1], v[8:9], v[4:5], v[0:1]
	v_fma_f64 v[6:7], v[4:5], v[10:11], -v[6:7]
	v_mad_u64_u32 v[8:9], s[4:5], s8, v20, 0
	v_mov_b32_e32 v4, v9
	v_mad_u64_u32 v[9:10], s[4:5], s9, v20, v[4:5]
	v_mul_f64 v[4:5], v[0:1], s[2:3]
	v_mul_f64 v[6:7], v[6:7], s[2:3]
	v_lshlrev_b64 v[0:1], 4, v[8:9]
	v_add_co_u32_e32 v0, vcc, v2, v0
	v_addc_co_u32_e32 v1, vcc, v3, v1, vcc
	global_store_dwordx4 v[0:1], v[4:7], off
	global_load_dwordx4 v[0:3], v[18:19], off offset:2576
	s_waitcnt vmcnt(0) lgkmcnt(0)
	v_mul_f64 v[4:5], v[14:15], v[2:3]
	v_mul_f64 v[2:3], v[12:13], v[2:3]
	v_fma_f64 v[4:5], v[12:13], v[0:1], v[4:5]
	v_fma_f64 v[2:3], v[0:1], v[14:15], -v[2:3]
	v_mul_f64 v[0:1], v[4:5], s[2:3]
	v_mul_f64 v[2:3], v[2:3], s[2:3]
	v_mad_u64_u32 v[4:5], s[2:3], s8, v22, v[16:17]
	v_add_u32_e32 v5, s0, v5
	global_store_dwordx4 v[4:5], v[0:3], off
.LBB0_15:
	s_endpgm
	.section	.rodata,"a",@progbits
	.p2align	6, 0x0
	.amdhsa_kernel bluestein_single_back_len425_dim1_dp_op_CI_CI
		.amdhsa_group_segment_fixed_size 20400
		.amdhsa_private_segment_fixed_size 1344
		.amdhsa_kernarg_size 104
		.amdhsa_user_sgpr_count 6
		.amdhsa_user_sgpr_private_segment_buffer 1
		.amdhsa_user_sgpr_dispatch_ptr 0
		.amdhsa_user_sgpr_queue_ptr 0
		.amdhsa_user_sgpr_kernarg_segment_ptr 1
		.amdhsa_user_sgpr_dispatch_id 0
		.amdhsa_user_sgpr_flat_scratch_init 0
		.amdhsa_user_sgpr_private_segment_size 0
		.amdhsa_uses_dynamic_stack 0
		.amdhsa_system_sgpr_private_segment_wavefront_offset 1
		.amdhsa_system_sgpr_workgroup_id_x 1
		.amdhsa_system_sgpr_workgroup_id_y 0
		.amdhsa_system_sgpr_workgroup_id_z 0
		.amdhsa_system_sgpr_workgroup_info 0
		.amdhsa_system_vgpr_workitem_id 0
		.amdhsa_next_free_vgpr 256
		.amdhsa_next_free_sgpr 64
		.amdhsa_reserve_vcc 1
		.amdhsa_reserve_flat_scratch 0
		.amdhsa_float_round_mode_32 0
		.amdhsa_float_round_mode_16_64 0
		.amdhsa_float_denorm_mode_32 3
		.amdhsa_float_denorm_mode_16_64 3
		.amdhsa_dx10_clamp 1
		.amdhsa_ieee_mode 1
		.amdhsa_fp16_overflow 0
		.amdhsa_exception_fp_ieee_invalid_op 0
		.amdhsa_exception_fp_denorm_src 0
		.amdhsa_exception_fp_ieee_div_zero 0
		.amdhsa_exception_fp_ieee_overflow 0
		.amdhsa_exception_fp_ieee_underflow 0
		.amdhsa_exception_fp_ieee_inexact 0
		.amdhsa_exception_int_div_zero 0
	.end_amdhsa_kernel
	.text
.Lfunc_end0:
	.size	bluestein_single_back_len425_dim1_dp_op_CI_CI, .Lfunc_end0-bluestein_single_back_len425_dim1_dp_op_CI_CI
                                        ; -- End function
	.section	.AMDGPU.csdata,"",@progbits
; Kernel info:
; codeLenInByte = 56324
; NumSgprs: 68
; NumVgprs: 256
; ScratchSize: 1344
; MemoryBound: 0
; FloatMode: 240
; IeeeMode: 1
; LDSByteSize: 20400 bytes/workgroup (compile time only)
; SGPRBlocks: 8
; VGPRBlocks: 63
; NumSGPRsForWavesPerEU: 68
; NumVGPRsForWavesPerEU: 256
; Occupancy: 1
; WaveLimiterHint : 1
; COMPUTE_PGM_RSRC2:SCRATCH_EN: 1
; COMPUTE_PGM_RSRC2:USER_SGPR: 6
; COMPUTE_PGM_RSRC2:TRAP_HANDLER: 0
; COMPUTE_PGM_RSRC2:TGID_X_EN: 1
; COMPUTE_PGM_RSRC2:TGID_Y_EN: 0
; COMPUTE_PGM_RSRC2:TGID_Z_EN: 0
; COMPUTE_PGM_RSRC2:TIDIG_COMP_CNT: 0
	.type	__hip_cuid_2c8972dae2d48a7e,@object ; @__hip_cuid_2c8972dae2d48a7e
	.section	.bss,"aw",@nobits
	.globl	__hip_cuid_2c8972dae2d48a7e
__hip_cuid_2c8972dae2d48a7e:
	.byte	0                               ; 0x0
	.size	__hip_cuid_2c8972dae2d48a7e, 1

	.ident	"AMD clang version 19.0.0git (https://github.com/RadeonOpenCompute/llvm-project roc-6.4.0 25133 c7fe45cf4b819c5991fe208aaa96edf142730f1d)"
	.section	".note.GNU-stack","",@progbits
	.addrsig
	.addrsig_sym __hip_cuid_2c8972dae2d48a7e
	.amdgpu_metadata
---
amdhsa.kernels:
  - .args:
      - .actual_access:  read_only
        .address_space:  global
        .offset:         0
        .size:           8
        .value_kind:     global_buffer
      - .actual_access:  read_only
        .address_space:  global
        .offset:         8
        .size:           8
        .value_kind:     global_buffer
      - .actual_access:  read_only
        .address_space:  global
        .offset:         16
        .size:           8
        .value_kind:     global_buffer
      - .actual_access:  read_only
        .address_space:  global
        .offset:         24
        .size:           8
        .value_kind:     global_buffer
      - .actual_access:  read_only
        .address_space:  global
        .offset:         32
        .size:           8
        .value_kind:     global_buffer
      - .offset:         40
        .size:           8
        .value_kind:     by_value
      - .address_space:  global
        .offset:         48
        .size:           8
        .value_kind:     global_buffer
      - .address_space:  global
        .offset:         56
        .size:           8
        .value_kind:     global_buffer
      - .address_space:  global
        .offset:         64
        .size:           8
        .value_kind:     global_buffer
      - .address_space:  global
        .offset:         72
        .size:           8
        .value_kind:     global_buffer
      - .offset:         80
        .size:           4
        .value_kind:     by_value
      - .address_space:  global
        .offset:         88
        .size:           8
        .value_kind:     global_buffer
      - .address_space:  global
        .offset:         96
        .size:           8
        .value_kind:     global_buffer
    .group_segment_fixed_size: 20400
    .kernarg_segment_align: 8
    .kernarg_segment_size: 104
    .language:       OpenCL C
    .language_version:
      - 2
      - 0
    .max_flat_workgroup_size: 51
    .name:           bluestein_single_back_len425_dim1_dp_op_CI_CI
    .private_segment_fixed_size: 1344
    .sgpr_count:     68
    .sgpr_spill_count: 0
    .symbol:         bluestein_single_back_len425_dim1_dp_op_CI_CI.kd
    .uniform_work_group_size: 1
    .uses_dynamic_stack: false
    .vgpr_count:     256
    .vgpr_spill_count: 439
    .wavefront_size: 64
amdhsa.target:   amdgcn-amd-amdhsa--gfx906
amdhsa.version:
  - 1
  - 2
...

	.end_amdgpu_metadata
